;; amdgpu-corpus repo=pytorch/pytorch kind=compiled arch=gfx906 opt=O3
	.amdgcn_target "amdgcn-amd-amdhsa--gfx906"
	.amdhsa_code_object_version 6
	.section	.text._ZN7rocprim17ROCPRIM_304000_NS6detail28radix_sort_block_sort_kernelINS1_36wrapped_radix_sort_block_sort_configINS0_13kernel_configILj256ELj4ELj4294967295EEEiN2at4cuda3cub6detail10OpaqueTypeILi4EEEEELb1EPKiPiPKSB_PSB_NS0_19identity_decomposerEEEvT1_T2_T3_T4_jT5_jj,"axG",@progbits,_ZN7rocprim17ROCPRIM_304000_NS6detail28radix_sort_block_sort_kernelINS1_36wrapped_radix_sort_block_sort_configINS0_13kernel_configILj256ELj4ELj4294967295EEEiN2at4cuda3cub6detail10OpaqueTypeILi4EEEEELb1EPKiPiPKSB_PSB_NS0_19identity_decomposerEEEvT1_T2_T3_T4_jT5_jj,comdat
	.protected	_ZN7rocprim17ROCPRIM_304000_NS6detail28radix_sort_block_sort_kernelINS1_36wrapped_radix_sort_block_sort_configINS0_13kernel_configILj256ELj4ELj4294967295EEEiN2at4cuda3cub6detail10OpaqueTypeILi4EEEEELb1EPKiPiPKSB_PSB_NS0_19identity_decomposerEEEvT1_T2_T3_T4_jT5_jj ; -- Begin function _ZN7rocprim17ROCPRIM_304000_NS6detail28radix_sort_block_sort_kernelINS1_36wrapped_radix_sort_block_sort_configINS0_13kernel_configILj256ELj4ELj4294967295EEEiN2at4cuda3cub6detail10OpaqueTypeILi4EEEEELb1EPKiPiPKSB_PSB_NS0_19identity_decomposerEEEvT1_T2_T3_T4_jT5_jj
	.globl	_ZN7rocprim17ROCPRIM_304000_NS6detail28radix_sort_block_sort_kernelINS1_36wrapped_radix_sort_block_sort_configINS0_13kernel_configILj256ELj4ELj4294967295EEEiN2at4cuda3cub6detail10OpaqueTypeILi4EEEEELb1EPKiPiPKSB_PSB_NS0_19identity_decomposerEEEvT1_T2_T3_T4_jT5_jj
	.p2align	8
	.type	_ZN7rocprim17ROCPRIM_304000_NS6detail28radix_sort_block_sort_kernelINS1_36wrapped_radix_sort_block_sort_configINS0_13kernel_configILj256ELj4ELj4294967295EEEiN2at4cuda3cub6detail10OpaqueTypeILi4EEEEELb1EPKiPiPKSB_PSB_NS0_19identity_decomposerEEEvT1_T2_T3_T4_jT5_jj,@function
_ZN7rocprim17ROCPRIM_304000_NS6detail28radix_sort_block_sort_kernelINS1_36wrapped_radix_sort_block_sort_configINS0_13kernel_configILj256ELj4ELj4294967295EEEiN2at4cuda3cub6detail10OpaqueTypeILi4EEEEELb1EPKiPiPKSB_PSB_NS0_19identity_decomposerEEEvT1_T2_T3_T4_jT5_jj: ; @_ZN7rocprim17ROCPRIM_304000_NS6detail28radix_sort_block_sort_kernelINS1_36wrapped_radix_sort_block_sort_configINS0_13kernel_configILj256ELj4ELj4294967295EEEiN2at4cuda3cub6detail10OpaqueTypeILi4EEEEELb1EPKiPiPKSB_PSB_NS0_19identity_decomposerEEEvT1_T2_T3_T4_jT5_jj
; %bb.0:
	s_load_dword s7, s[4:5], 0x20
	s_load_dwordx8 s[36:43], s[4:5], 0x0
	s_lshl_b32 s0, s6, 10
	s_mov_b32 s1, 0
	v_mbcnt_lo_u32_b32 v3, -1, 0
	s_waitcnt lgkmcnt(0)
	s_lshr_b32 s2, s7, 10
	s_cmp_lg_u32 s6, s2
	s_cselect_b64 s[30:31], -1, 0
	s_lshl_b64 s[28:29], s[0:1], 2
	s_add_u32 s1, s36, s28
	v_mbcnt_hi_u32_b32 v9, -1, v3
	s_addc_u32 s3, s37, s29
	v_lshlrev_b32_e32 v17, 2, v0
	v_lshlrev_b32_e32 v14, 2, v9
	v_and_b32_e32 v15, 0x300, v17
	v_mov_b32_e32 v3, s3
	v_add_co_u32_e32 v4, vcc, s1, v14
	v_addc_co_u32_e32 v3, vcc, 0, v3, vcc
	v_lshlrev_b32_e32 v10, 2, v15
	v_add_co_u32_e32 v7, vcc, v4, v10
	s_cmp_eq_u32 s6, s2
	v_addc_co_u32_e32 v8, vcc, 0, v3, vcc
	s_cbranch_scc1 .LBB0_2
; %bb.1:
	s_add_u32 s1, s40, s28
	s_addc_u32 s2, s41, s29
	v_mov_b32_e32 v11, s2
	v_add_co_u32_e32 v12, vcc, s1, v14
	v_addc_co_u32_e32 v11, vcc, 0, v11, vcc
	v_add_co_u32_e32 v18, vcc, v12, v10
	global_load_dword v3, v[7:8], off
	global_load_dword v4, v[7:8], off offset:256
	global_load_dword v5, v[7:8], off offset:512
	;; [unrolled: 1-line block ×3, first 2 shown]
	v_addc_co_u32_e32 v19, vcc, 0, v11, vcc
	global_load_dword v11, v[18:19], off
	global_load_dword v12, v[18:19], off offset:256
	global_load_dword v13, v[18:19], off offset:512
	s_mov_b64 s[8:9], -1
	s_sub_i32 s33, s7, s0
	s_cbranch_execz .LBB0_3
	s_branch .LBB0_16
.LBB0_2:
	s_mov_b64 s[8:9], 0
                                        ; implicit-def: $vgpr3_vgpr4_vgpr5_vgpr6
                                        ; implicit-def: $vgpr11
                                        ; implicit-def: $vgpr13
	s_sub_i32 s33, s7, s0
.LBB0_3:
	s_waitcnt vmcnt(2)
	v_add_u32_e32 v11, v9, v15
	v_bfrev_b32_e32 v3, 1
	v_cmp_gt_u32_e32 vcc, s33, v11
	v_mov_b32_e32 v4, v3
	v_mov_b32_e32 v5, v3
	v_mov_b32_e32 v6, v3
	s_and_saveexec_b64 s[0:1], vcc
	s_cbranch_execz .LBB0_5
; %bb.4:
	global_load_dword v18, v[7:8], off
	v_mov_b32_e32 v19, v3
	v_mov_b32_e32 v20, v3
	;; [unrolled: 1-line block ×3, first 2 shown]
	s_waitcnt vmcnt(0)
	v_mov_b32_e32 v3, v18
	v_mov_b32_e32 v4, v19
	;; [unrolled: 1-line block ×4, first 2 shown]
.LBB0_5:
	s_or_b64 exec, exec, s[0:1]
	s_waitcnt vmcnt(1)
	v_add_u32_e32 v12, 64, v11
	v_cmp_gt_u32_e64 s[0:1], s33, v12
	s_and_saveexec_b64 s[2:3], s[0:1]
	s_cbranch_execz .LBB0_7
; %bb.6:
	global_load_dword v4, v[7:8], off offset:256
.LBB0_7:
	s_or_b64 exec, exec, s[2:3]
	v_add_u32_e32 v12, 0x80, v11
	v_cmp_gt_u32_e64 s[2:3], s33, v12
	s_and_saveexec_b64 s[6:7], s[2:3]
	s_cbranch_execz .LBB0_9
; %bb.8:
	global_load_dword v5, v[7:8], off offset:512
.LBB0_9:
	s_or_b64 exec, exec, s[6:7]
	;; [unrolled: 8-line block ×3, first 2 shown]
	s_add_u32 s6, s40, s28
	s_addc_u32 s7, s41, s29
	v_mov_b32_e32 v7, s7
	v_add_co_u32_e64 v8, s[6:7], s6, v14
	v_addc_co_u32_e64 v11, s[6:7], 0, v7, s[6:7]
	v_add_co_u32_e64 v7, s[6:7], v8, v10
	v_addc_co_u32_e64 v8, s[6:7], 0, v11, s[6:7]
                                        ; implicit-def: $vgpr11
	s_and_saveexec_b64 s[6:7], vcc
	s_cbranch_execnz .LBB0_55
; %bb.12:
	s_or_b64 exec, exec, s[6:7]
	s_and_saveexec_b64 s[6:7], s[0:1]
	s_cbranch_execnz .LBB0_56
.LBB0_13:
	s_or_b64 exec, exec, s[6:7]
                                        ; implicit-def: $vgpr13
	s_and_saveexec_b64 s[0:1], s[2:3]
	s_cbranch_execz .LBB0_15
.LBB0_14:
	global_load_dword v13, v[7:8], off offset:512
.LBB0_15:
	s_or_b64 exec, exec, s[0:1]
.LBB0_16:
	s_and_saveexec_b64 s[0:1], s[8:9]
	s_cbranch_execz .LBB0_18
; %bb.17:
	s_add_u32 s2, s40, s28
	s_addc_u32 s3, s41, s29
	v_mov_b32_e32 v7, s3
	v_add_co_u32_e32 v8, vcc, s2, v14
	v_addc_co_u32_e32 v14, vcc, 0, v7, vcc
	v_add_co_u32_e32 v7, vcc, v8, v10
	v_addc_co_u32_e32 v8, vcc, 0, v14, vcc
	global_load_dword v14, v[7:8], off offset:768
.LBB0_18:
	s_or_b64 exec, exec, s[0:1]
	s_load_dwordx2 s[34:35], s[4:5], 0x28
	s_load_dword s0, s[4:5], 0x3c
	s_mov_b32 s26, 0
	s_mov_b32 s40, s26
	;; [unrolled: 1-line block ×4, first 2 shown]
	s_waitcnt lgkmcnt(0)
	s_lshr_b32 s1, s0, 16
	s_and_b32 s0, s0, 0xffff
	v_mad_u32_u24 v1, v2, s1, v1
	v_mad_u64_u32 v[7:8], s[0:1], v1, s0, v[0:1]
	s_waitcnt vmcnt(0)
	v_xor_b32_e32 v1, 0x7fffffff, v5
	v_xor_b32_e32 v2, 0x7fffffff, v6
	v_lshrrev_b32_e32 v5, 4, v7
	v_and_b32_e32 v19, 0xffffffc, v5
	v_and_b32_e32 v5, 15, v9
	v_cmp_eq_u32_e64 s[0:1], 0, v5
	v_cmp_lt_u32_e64 s[2:3], 1, v5
	v_cmp_lt_u32_e64 s[4:5], 3, v5
	;; [unrolled: 1-line block ×3, first 2 shown]
	v_and_b32_e32 v5, 16, v9
	v_cmp_eq_u32_e64 s[8:9], 0, v5
	v_or_b32_e32 v5, 63, v0
	v_cmp_eq_u32_e64 s[12:13], v0, v5
	v_subrev_co_u32_e64 v5, s[18:19], 1, v9
	v_and_b32_e32 v6, 64, v9
	v_cmp_lt_i32_e32 vcc, v5, v6
	v_cndmask_b32_e32 v5, v5, v9, vcc
	v_lshlrev_b32_e32 v21, 2, v5
	v_lshrrev_b32_e32 v5, 4, v0
	v_and_b32_e32 v22, 12, v5
	v_and_b32_e32 v5, 3, v9
	v_cmp_eq_u32_e64 s[22:23], 0, v5
	v_cmp_lt_u32_e64 s[24:25], 1, v5
	v_mov_b32_e32 v5, s26
	v_mov_b32_e32 v7, s40
	v_xor_b32_e32 v3, 0x7fffffff, v3
	v_xor_b32_e32 v4, 0x7fffffff, v4
	s_add_i32 s36, s35, s34
	v_lshlrev_b32_e32 v18, 2, v17
	v_cmp_lt_u32_e64 s[10:11], 31, v9
	v_cmp_gt_u32_e64 s[14:15], 4, v0
	v_cmp_lt_u32_e64 s[16:17], 63, v0
	v_cmp_eq_u32_e64 s[20:21], 0, v0
	v_mul_i32_i24_e32 v20, -12, v0
	v_lshl_add_u32 v23, v9, 2, v10
	v_mov_b32_e32 v6, s27
	v_mov_b32_e32 v8, s41
	;; [unrolled: 1-line block ×3, first 2 shown]
	s_branch .LBB0_20
.LBB0_19:                               ;   in Loop: Header=BB0_20 Depth=1
	s_andn2_b64 vcc, exec, s[26:27]
	s_mov_b32 s35, s37
	s_cbranch_vccz .LBB0_36
.LBB0_20:                               ; =>This Inner Loop Header: Depth=1
	s_min_u32 s26, s35, 8
	v_mov_b32_e32 v24, v3
	s_lshl_b32 s26, -1, s26
	s_not_b32 s37, s26
	v_lshrrev_b32_e32 v3, s34, v24
	v_and_b32_e32 v3, s37, v3
	v_and_b32_e32 v10, 1, v3
	v_add_co_u32_e64 v15, s[26:27], -1, v10
	v_cmp_ne_u32_e32 vcc, 0, v10
	v_addc_co_u32_e64 v10, s[26:27], 0, -1, s[26:27]
	v_xor_b32_e32 v10, vcc_hi, v10
	v_and_b32_e32 v16, exec_hi, v10
	v_lshlrev_b32_e32 v10, 30, v3
	v_cmp_gt_i64_e64 s[26:27], 0, v[9:10]
	v_not_b32_e32 v10, v10
	v_ashrrev_i32_e32 v10, 31, v10
	v_xor_b32_e32 v15, vcc_lo, v15
	v_xor_b32_e32 v25, s27, v10
	v_and_b32_e32 v15, exec_lo, v15
	v_xor_b32_e32 v10, s26, v10
	v_and_b32_e32 v15, v15, v10
	v_lshlrev_b32_e32 v10, 29, v3
	v_cmp_gt_i64_e32 vcc, 0, v[9:10]
	v_not_b32_e32 v10, v10
	v_ashrrev_i32_e32 v10, 31, v10
	v_and_b32_e32 v16, v16, v25
	v_xor_b32_e32 v25, vcc_hi, v10
	v_xor_b32_e32 v10, vcc_lo, v10
	v_and_b32_e32 v15, v15, v10
	v_lshlrev_b32_e32 v10, 28, v3
	v_cmp_gt_i64_e32 vcc, 0, v[9:10]
	v_not_b32_e32 v10, v10
	v_ashrrev_i32_e32 v10, 31, v10
	v_and_b32_e32 v16, v16, v25
	v_xor_b32_e32 v25, vcc_hi, v10
	v_xor_b32_e32 v10, vcc_lo, v10
	v_and_b32_e32 v15, v15, v10
	v_lshlrev_b32_e32 v10, 27, v3
	v_cmp_gt_i64_e32 vcc, 0, v[9:10]
	v_not_b32_e32 v10, v10
	v_ashrrev_i32_e32 v10, 31, v10
	v_and_b32_e32 v16, v16, v25
	v_xor_b32_e32 v25, vcc_hi, v10
	v_xor_b32_e32 v10, vcc_lo, v10
	v_and_b32_e32 v15, v15, v10
	v_lshlrev_b32_e32 v10, 26, v3
	v_cmp_gt_i64_e32 vcc, 0, v[9:10]
	v_not_b32_e32 v10, v10
	v_ashrrev_i32_e32 v10, 31, v10
	v_and_b32_e32 v16, v16, v25
	v_xor_b32_e32 v25, vcc_hi, v10
	v_xor_b32_e32 v10, vcc_lo, v10
	v_and_b32_e32 v15, v15, v10
	v_lshlrev_b32_e32 v10, 25, v3
	v_cmp_gt_i64_e32 vcc, 0, v[9:10]
	v_not_b32_e32 v10, v10
	v_ashrrev_i32_e32 v10, 31, v10
	v_and_b32_e32 v16, v16, v25
	v_xor_b32_e32 v25, vcc_hi, v10
	v_xor_b32_e32 v10, vcc_lo, v10
	v_and_b32_e32 v15, v15, v10
	v_lshlrev_b32_e32 v10, 24, v3
	v_cmp_gt_i64_e32 vcc, 0, v[9:10]
	v_not_b32_e32 v10, v10
	v_ashrrev_i32_e32 v10, 31, v10
	v_and_b32_e32 v16, v16, v25
	v_xor_b32_e32 v25, vcc_hi, v10
	v_xor_b32_e32 v10, vcc_lo, v10
	v_and_b32_e32 v15, v15, v10
	v_and_b32_e32 v16, v16, v25
	v_mov_b32_e32 v29, v2
	v_mbcnt_lo_u32_b32 v2, v15, 0
	v_mov_b32_e32 v28, v11
	v_mbcnt_hi_u32_b32 v11, v16, v2
	v_cmp_ne_u64_e32 vcc, 0, v[15:16]
	v_mov_b32_e32 v30, v1
	v_lshlrev_b32_e32 v1, 4, v3
	v_cmp_eq_u32_e64 s[26:27], 0, v11
	v_mov_b32_e32 v31, v4
	v_mov_b32_e32 v27, v12
	;; [unrolled: 1-line block ×4, first 2 shown]
	s_and_b64 s[40:41], vcc, s[26:27]
	v_add_u32_e32 v12, v19, v1
	ds_write2_b64 v18, v[5:6], v[7:8] offset0:2 offset1:3
	s_waitcnt lgkmcnt(0)
	s_barrier
	; wave barrier
	s_and_saveexec_b64 s[26:27], s[40:41]
; %bb.21:                               ;   in Loop: Header=BB0_20 Depth=1
	v_bcnt_u32_b32 v1, v15, 0
	v_bcnt_u32_b32 v1, v16, v1
	ds_write_b32 v12, v1 offset:16
; %bb.22:                               ;   in Loop: Header=BB0_20 Depth=1
	s_or_b64 exec, exec, s[26:27]
	v_lshrrev_b32_e32 v1, s34, v31
	v_and_b32_e32 v1, s37, v1
	v_lshlrev_b32_e32 v2, 4, v1
	v_add_u32_e32 v14, v19, v2
	v_and_b32_e32 v2, 1, v1
	v_add_co_u32_e32 v3, vcc, -1, v2
	v_addc_co_u32_e64 v4, s[26:27], 0, -1, vcc
	v_cmp_ne_u32_e32 vcc, 0, v2
	v_lshlrev_b32_e32 v10, 30, v1
	v_xor_b32_e32 v2, vcc_hi, v4
	v_xor_b32_e32 v3, vcc_lo, v3
	v_cmp_gt_i64_e32 vcc, 0, v[9:10]
	v_not_b32_e32 v4, v10
	v_ashrrev_i32_e32 v4, 31, v4
	v_and_b32_e32 v2, exec_hi, v2
	v_xor_b32_e32 v10, vcc_hi, v4
	v_and_b32_e32 v3, exec_lo, v3
	v_xor_b32_e32 v4, vcc_lo, v4
	v_and_b32_e32 v2, v2, v10
	v_lshlrev_b32_e32 v10, 29, v1
	v_and_b32_e32 v3, v3, v4
	v_cmp_gt_i64_e32 vcc, 0, v[9:10]
	v_not_b32_e32 v4, v10
	v_ashrrev_i32_e32 v4, 31, v4
	v_xor_b32_e32 v10, vcc_hi, v4
	v_xor_b32_e32 v4, vcc_lo, v4
	v_and_b32_e32 v2, v2, v10
	v_lshlrev_b32_e32 v10, 28, v1
	v_and_b32_e32 v3, v3, v4
	v_cmp_gt_i64_e32 vcc, 0, v[9:10]
	v_not_b32_e32 v4, v10
	v_ashrrev_i32_e32 v4, 31, v4
	v_xor_b32_e32 v10, vcc_hi, v4
	v_xor_b32_e32 v4, vcc_lo, v4
	v_and_b32_e32 v2, v2, v10
	v_lshlrev_b32_e32 v10, 27, v1
	v_and_b32_e32 v3, v3, v4
	v_cmp_gt_i64_e32 vcc, 0, v[9:10]
	v_not_b32_e32 v4, v10
	v_ashrrev_i32_e32 v4, 31, v4
	v_xor_b32_e32 v10, vcc_hi, v4
	v_xor_b32_e32 v4, vcc_lo, v4
	v_and_b32_e32 v2, v2, v10
	v_lshlrev_b32_e32 v10, 26, v1
	v_and_b32_e32 v3, v3, v4
	v_cmp_gt_i64_e32 vcc, 0, v[9:10]
	v_not_b32_e32 v4, v10
	v_ashrrev_i32_e32 v4, 31, v4
	v_xor_b32_e32 v10, vcc_hi, v4
	v_xor_b32_e32 v4, vcc_lo, v4
	v_and_b32_e32 v2, v2, v10
	v_lshlrev_b32_e32 v10, 25, v1
	v_and_b32_e32 v3, v3, v4
	v_cmp_gt_i64_e32 vcc, 0, v[9:10]
	v_not_b32_e32 v4, v10
	v_ashrrev_i32_e32 v4, 31, v4
	v_xor_b32_e32 v10, vcc_hi, v4
	v_and_b32_e32 v2, v2, v10
	v_lshlrev_b32_e32 v10, 24, v1
	v_xor_b32_e32 v4, vcc_lo, v4
	v_cmp_gt_i64_e32 vcc, 0, v[9:10]
	v_not_b32_e32 v1, v10
	v_ashrrev_i32_e32 v1, 31, v1
	v_and_b32_e32 v3, v3, v4
	v_xor_b32_e32 v4, vcc_hi, v1
	v_xor_b32_e32 v1, vcc_lo, v1
	; wave barrier
	ds_read_b32 v13, v14 offset:16
	v_and_b32_e32 v1, v3, v1
	v_and_b32_e32 v2, v2, v4
	v_mbcnt_lo_u32_b32 v3, v1, 0
	v_mbcnt_hi_u32_b32 v15, v2, v3
	v_cmp_ne_u64_e32 vcc, 0, v[1:2]
	v_cmp_eq_u32_e64 s[26:27], 0, v15
	s_and_b64 s[40:41], vcc, s[26:27]
	; wave barrier
	s_and_saveexec_b64 s[26:27], s[40:41]
	s_cbranch_execz .LBB0_24
; %bb.23:                               ;   in Loop: Header=BB0_20 Depth=1
	v_bcnt_u32_b32 v1, v1, 0
	v_bcnt_u32_b32 v1, v2, v1
	s_waitcnt lgkmcnt(0)
	v_add_u32_e32 v1, v13, v1
	ds_write_b32 v14, v1 offset:16
.LBB0_24:                               ;   in Loop: Header=BB0_20 Depth=1
	s_or_b64 exec, exec, s[26:27]
	v_lshrrev_b32_e32 v1, s34, v30
	v_and_b32_e32 v1, s37, v1
	v_lshlrev_b32_e32 v2, 4, v1
	v_add_u32_e32 v32, v19, v2
	v_and_b32_e32 v2, 1, v1
	v_add_co_u32_e32 v3, vcc, -1, v2
	v_addc_co_u32_e64 v4, s[26:27], 0, -1, vcc
	v_cmp_ne_u32_e32 vcc, 0, v2
	v_lshlrev_b32_e32 v10, 30, v1
	v_xor_b32_e32 v2, vcc_hi, v4
	v_xor_b32_e32 v3, vcc_lo, v3
	v_cmp_gt_i64_e32 vcc, 0, v[9:10]
	v_not_b32_e32 v4, v10
	v_ashrrev_i32_e32 v4, 31, v4
	v_and_b32_e32 v2, exec_hi, v2
	v_xor_b32_e32 v10, vcc_hi, v4
	v_and_b32_e32 v3, exec_lo, v3
	v_xor_b32_e32 v4, vcc_lo, v4
	v_and_b32_e32 v2, v2, v10
	v_lshlrev_b32_e32 v10, 29, v1
	v_and_b32_e32 v3, v3, v4
	v_cmp_gt_i64_e32 vcc, 0, v[9:10]
	v_not_b32_e32 v4, v10
	v_ashrrev_i32_e32 v4, 31, v4
	v_xor_b32_e32 v10, vcc_hi, v4
	v_xor_b32_e32 v4, vcc_lo, v4
	v_and_b32_e32 v2, v2, v10
	v_lshlrev_b32_e32 v10, 28, v1
	v_and_b32_e32 v3, v3, v4
	v_cmp_gt_i64_e32 vcc, 0, v[9:10]
	v_not_b32_e32 v4, v10
	v_ashrrev_i32_e32 v4, 31, v4
	v_xor_b32_e32 v10, vcc_hi, v4
	;; [unrolled: 8-line block ×5, first 2 shown]
	v_and_b32_e32 v2, v2, v10
	v_lshlrev_b32_e32 v10, 24, v1
	v_xor_b32_e32 v4, vcc_lo, v4
	v_cmp_gt_i64_e32 vcc, 0, v[9:10]
	v_not_b32_e32 v1, v10
	v_ashrrev_i32_e32 v1, 31, v1
	v_and_b32_e32 v3, v3, v4
	v_xor_b32_e32 v4, vcc_hi, v1
	v_xor_b32_e32 v1, vcc_lo, v1
	; wave barrier
	ds_read_b32 v16, v32 offset:16
	v_and_b32_e32 v1, v3, v1
	v_and_b32_e32 v2, v2, v4
	v_mbcnt_lo_u32_b32 v3, v1, 0
	v_mbcnt_hi_u32_b32 v33, v2, v3
	v_cmp_ne_u64_e32 vcc, 0, v[1:2]
	v_cmp_eq_u32_e64 s[26:27], 0, v33
	s_and_b64 s[40:41], vcc, s[26:27]
	; wave barrier
	s_and_saveexec_b64 s[26:27], s[40:41]
	s_cbranch_execz .LBB0_26
; %bb.25:                               ;   in Loop: Header=BB0_20 Depth=1
	v_bcnt_u32_b32 v1, v1, 0
	v_bcnt_u32_b32 v1, v2, v1
	s_waitcnt lgkmcnt(0)
	v_add_u32_e32 v1, v16, v1
	ds_write_b32 v32, v1 offset:16
.LBB0_26:                               ;   in Loop: Header=BB0_20 Depth=1
	s_or_b64 exec, exec, s[26:27]
	v_lshrrev_b32_e32 v1, s34, v29
	v_and_b32_e32 v1, s37, v1
	v_lshlrev_b32_e32 v2, 4, v1
	v_add_u32_e32 v35, v19, v2
	v_and_b32_e32 v2, 1, v1
	v_add_co_u32_e32 v3, vcc, -1, v2
	v_addc_co_u32_e64 v4, s[26:27], 0, -1, vcc
	v_cmp_ne_u32_e32 vcc, 0, v2
	v_lshlrev_b32_e32 v10, 30, v1
	v_xor_b32_e32 v2, vcc_hi, v4
	v_xor_b32_e32 v3, vcc_lo, v3
	v_cmp_gt_i64_e32 vcc, 0, v[9:10]
	v_not_b32_e32 v4, v10
	v_ashrrev_i32_e32 v4, 31, v4
	v_and_b32_e32 v2, exec_hi, v2
	v_xor_b32_e32 v10, vcc_hi, v4
	v_and_b32_e32 v3, exec_lo, v3
	v_xor_b32_e32 v4, vcc_lo, v4
	v_and_b32_e32 v2, v2, v10
	v_lshlrev_b32_e32 v10, 29, v1
	v_and_b32_e32 v3, v3, v4
	v_cmp_gt_i64_e32 vcc, 0, v[9:10]
	v_not_b32_e32 v4, v10
	v_ashrrev_i32_e32 v4, 31, v4
	v_xor_b32_e32 v10, vcc_hi, v4
	v_xor_b32_e32 v4, vcc_lo, v4
	v_and_b32_e32 v2, v2, v10
	v_lshlrev_b32_e32 v10, 28, v1
	v_and_b32_e32 v3, v3, v4
	v_cmp_gt_i64_e32 vcc, 0, v[9:10]
	v_not_b32_e32 v4, v10
	v_ashrrev_i32_e32 v4, 31, v4
	v_xor_b32_e32 v10, vcc_hi, v4
	;; [unrolled: 8-line block ×5, first 2 shown]
	v_and_b32_e32 v2, v2, v10
	v_lshlrev_b32_e32 v10, 24, v1
	v_xor_b32_e32 v4, vcc_lo, v4
	v_cmp_gt_i64_e32 vcc, 0, v[9:10]
	v_not_b32_e32 v1, v10
	v_ashrrev_i32_e32 v1, 31, v1
	v_and_b32_e32 v3, v3, v4
	v_xor_b32_e32 v4, vcc_hi, v1
	v_xor_b32_e32 v1, vcc_lo, v1
	; wave barrier
	ds_read_b32 v34, v35 offset:16
	v_and_b32_e32 v1, v3, v1
	v_and_b32_e32 v2, v2, v4
	v_mbcnt_lo_u32_b32 v3, v1, 0
	v_mbcnt_hi_u32_b32 v10, v2, v3
	v_cmp_ne_u64_e32 vcc, 0, v[1:2]
	v_cmp_eq_u32_e64 s[26:27], 0, v10
	s_and_b64 s[40:41], vcc, s[26:27]
	; wave barrier
	s_and_saveexec_b64 s[26:27], s[40:41]
	s_cbranch_execz .LBB0_28
; %bb.27:                               ;   in Loop: Header=BB0_20 Depth=1
	v_bcnt_u32_b32 v1, v1, 0
	v_bcnt_u32_b32 v1, v2, v1
	s_waitcnt lgkmcnt(0)
	v_add_u32_e32 v1, v34, v1
	ds_write_b32 v35, v1 offset:16
.LBB0_28:                               ;   in Loop: Header=BB0_20 Depth=1
	s_or_b64 exec, exec, s[26:27]
	; wave barrier
	s_waitcnt lgkmcnt(0)
	s_barrier
	ds_read2_b64 v[1:4], v18 offset0:2 offset1:3
	s_waitcnt lgkmcnt(0)
	v_add_u32_e32 v36, v2, v1
	v_add3_u32 v4, v36, v3, v4
	s_nop 1
	v_mov_b32_dpp v36, v4 row_shr:1 row_mask:0xf bank_mask:0xf
	v_cndmask_b32_e64 v36, v36, 0, s[0:1]
	v_add_u32_e32 v4, v36, v4
	s_nop 1
	v_mov_b32_dpp v36, v4 row_shr:2 row_mask:0xf bank_mask:0xf
	v_cndmask_b32_e64 v36, 0, v36, s[2:3]
	v_add_u32_e32 v4, v4, v36
	;; [unrolled: 4-line block ×4, first 2 shown]
	s_nop 1
	v_mov_b32_dpp v36, v4 row_bcast:15 row_mask:0xf bank_mask:0xf
	v_cndmask_b32_e64 v36, v36, 0, s[8:9]
	v_add_u32_e32 v4, v4, v36
	s_nop 1
	v_mov_b32_dpp v36, v4 row_bcast:31 row_mask:0xf bank_mask:0xf
	v_cndmask_b32_e64 v36, 0, v36, s[10:11]
	v_add_u32_e32 v4, v4, v36
	s_and_saveexec_b64 s[26:27], s[12:13]
; %bb.29:                               ;   in Loop: Header=BB0_20 Depth=1
	ds_write_b32 v22, v4
; %bb.30:                               ;   in Loop: Header=BB0_20 Depth=1
	s_or_b64 exec, exec, s[26:27]
	s_waitcnt lgkmcnt(0)
	s_barrier
	s_and_saveexec_b64 s[26:27], s[14:15]
	s_cbranch_execz .LBB0_32
; %bb.31:                               ;   in Loop: Header=BB0_20 Depth=1
	v_add_u32_e32 v36, v18, v20
	ds_read_b32 v37, v36
	s_waitcnt lgkmcnt(0)
	s_nop 0
	v_mov_b32_dpp v38, v37 row_shr:1 row_mask:0xf bank_mask:0xf
	v_cndmask_b32_e64 v38, v38, 0, s[22:23]
	v_add_u32_e32 v37, v38, v37
	s_nop 1
	v_mov_b32_dpp v38, v37 row_shr:2 row_mask:0xf bank_mask:0xf
	v_cndmask_b32_e64 v38, 0, v38, s[24:25]
	v_add_u32_e32 v37, v37, v38
	ds_write_b32 v36, v37
.LBB0_32:                               ;   in Loop: Header=BB0_20 Depth=1
	s_or_b64 exec, exec, s[26:27]
	v_mov_b32_e32 v36, 0
	s_waitcnt lgkmcnt(0)
	s_barrier
	s_and_saveexec_b64 s[26:27], s[16:17]
; %bb.33:                               ;   in Loop: Header=BB0_20 Depth=1
	v_add_u32_e32 v36, -4, v22
	ds_read_b32 v36, v36
; %bb.34:                               ;   in Loop: Header=BB0_20 Depth=1
	s_or_b64 exec, exec, s[26:27]
	s_waitcnt lgkmcnt(0)
	v_add_u32_e32 v4, v36, v4
	ds_bpermute_b32 v4, v21, v4
	v_lshlrev_b32_e32 v11, 2, v11
	s_add_i32 s34, s34, 8
	s_cmp_ge_u32 s34, s36
	s_mov_b64 s[26:27], -1
	s_waitcnt lgkmcnt(0)
	v_cndmask_b32_e64 v4, v4, v36, s[18:19]
	v_cndmask_b32_e64 v36, v4, 0, s[20:21]
	v_add_u32_e32 v37, v36, v1
	v_add_u32_e32 v1, v37, v2
	;; [unrolled: 1-line block ×3, first 2 shown]
	ds_write2_b64 v18, v[36:37], v[1:2] offset0:2 offset1:3
	s_waitcnt lgkmcnt(0)
	s_barrier
	ds_read_b32 v1, v12 offset:16
	ds_read_b32 v2, v14 offset:16
	;; [unrolled: 1-line block ×4, first 2 shown]
	v_readfirstlane_b32 s37, v0
	s_waitcnt lgkmcnt(3)
	v_lshl_add_u32 v32, v1, 2, v11
	v_lshlrev_b32_e32 v1, 2, v15
	v_lshlrev_b32_e32 v11, 2, v13
	s_waitcnt lgkmcnt(2)
	v_lshlrev_b32_e32 v2, 2, v2
	v_add3_u32 v15, v1, v11, v2
	v_lshlrev_b32_e32 v1, 2, v33
	v_lshlrev_b32_e32 v2, 2, v16
	s_waitcnt lgkmcnt(1)
	v_lshlrev_b32_e32 v3, 2, v3
	v_add3_u32 v16, v1, v2, v3
	;; [unrolled: 5-line block ×3, first 2 shown]
                                        ; implicit-def: $vgpr2
                                        ; implicit-def: $vgpr4
                                        ; implicit-def: $vgpr11
                                        ; implicit-def: $vgpr13
	s_cbranch_scc1 .LBB0_19
; %bb.35:                               ;   in Loop: Header=BB0_20 Depth=1
	s_barrier
	ds_write_b32 v32, v24
	ds_write_b32 v15, v31
	;; [unrolled: 1-line block ×4, first 2 shown]
	s_waitcnt lgkmcnt(0)
	s_barrier
	ds_read2st64_b32 v[3:4], v23 offset1:1
	ds_read2st64_b32 v[1:2], v23 offset0:2 offset1:3
	s_waitcnt lgkmcnt(0)
	s_barrier
	ds_write_b32 v32, v28
	ds_write_b32 v15, v27
	ds_write_b32 v16, v26
	ds_write_b32 v10, v25
	s_waitcnt lgkmcnt(0)
	s_barrier
	ds_read2st64_b32 v[11:12], v23 offset1:1
	ds_read2st64_b32 v[13:14], v23 offset0:2 offset1:3
	s_add_i32 s37, s35, -8
	s_mov_b64 s[26:27], 0
	s_waitcnt lgkmcnt(0)
	s_barrier
	s_branch .LBB0_19
.LBB0_36:
	v_add_u32_e32 v1, v18, v20
	s_barrier
	ds_write_b32 v32, v24
	ds_write_b32 v15, v31
	;; [unrolled: 1-line block ×4, first 2 shown]
	s_waitcnt lgkmcnt(0)
	s_barrier
	ds_read2st64_b32 v[5:6], v1 offset1:4
	ds_read2st64_b32 v[11:12], v1 offset0:8 offset1:12
	s_waitcnt lgkmcnt(0)
	s_barrier
	ds_write_b32 v32, v28
	ds_write_b32 v15, v27
	ds_write_b32 v16, v26
	ds_write_b32 v10, v25
	s_waitcnt lgkmcnt(0)
	s_barrier
	ds_read2st64_b32 v[3:4], v1 offset1:4
	ds_read2st64_b32 v[1:2], v1 offset0:8 offset1:12
	s_add_u32 s0, s38, s28
	s_addc_u32 s1, s39, s29
	v_xor_b32_e32 v10, 0x7fffffff, v5
	v_xor_b32_e32 v9, 0x7fffffff, v6
	v_mov_b32_e32 v6, s1
	v_add_co_u32_e64 v5, s[0:1], s0, v17
	v_xor_b32_e32 v8, 0x7fffffff, v11
	v_xor_b32_e32 v7, 0x7fffffff, v12
	s_andn2_b64 vcc, exec, s[30:31]
	v_addc_co_u32_e64 v6, s[0:1], 0, v6, s[0:1]
	s_cbranch_vccnz .LBB0_38
; %bb.37:
	s_add_u32 s0, s42, s28
	s_addc_u32 s1, s43, s29
	global_store_dword v[5:6], v10, off
	global_store_dword v[5:6], v9, off offset:1024
	global_store_dword v[5:6], v8, off offset:2048
	;; [unrolled: 1-line block ×3, first 2 shown]
	s_waitcnt lgkmcnt(1)
	global_store_dword v17, v3, s[0:1]
	global_store_dword v17, v4, s[0:1] offset:1024
	s_waitcnt lgkmcnt(0)
	global_store_dword v17, v1, s[0:1] offset:2048
	s_mov_b64 s[6:7], -1
	s_cbranch_execz .LBB0_39
	s_branch .LBB0_52
.LBB0_38:
	s_mov_b64 s[6:7], 0
.LBB0_39:
	v_cmp_gt_u32_e32 vcc, s33, v0
	s_and_saveexec_b64 s[0:1], vcc
	s_cbranch_execz .LBB0_41
; %bb.40:
	global_store_dword v[5:6], v10, off
.LBB0_41:
	s_or_b64 exec, exec, s[0:1]
	v_or_b32_e32 v10, 0x100, v0
	v_cmp_gt_u32_e64 s[0:1], s33, v10
	s_and_saveexec_b64 s[2:3], s[0:1]
	s_cbranch_execz .LBB0_43
; %bb.42:
	global_store_dword v[5:6], v9, off offset:1024
.LBB0_43:
	s_or_b64 exec, exec, s[2:3]
	v_or_b32_e32 v9, 0x200, v0
	v_cmp_gt_u32_e64 s[2:3], s33, v9
	s_and_saveexec_b64 s[4:5], s[2:3]
	s_cbranch_execz .LBB0_45
; %bb.44:
	global_store_dword v[5:6], v8, off offset:2048
.LBB0_45:
	;; [unrolled: 8-line block ×3, first 2 shown]
	s_or_b64 exec, exec, s[4:5]
	s_add_u32 s4, s42, s28
	s_addc_u32 s5, s43, s29
	v_mov_b32_e32 v0, s5
	v_add_co_u32_e64 v5, s[4:5], s4, v17
	v_addc_co_u32_e64 v6, s[4:5], 0, v0, s[4:5]
	s_and_saveexec_b64 s[4:5], vcc
	s_cbranch_execnz .LBB0_57
; %bb.48:
	s_or_b64 exec, exec, s[4:5]
	s_and_saveexec_b64 s[4:5], s[0:1]
	s_cbranch_execnz .LBB0_58
.LBB0_49:
	s_or_b64 exec, exec, s[4:5]
	s_and_saveexec_b64 s[0:1], s[2:3]
	s_cbranch_execz .LBB0_51
.LBB0_50:
	s_waitcnt lgkmcnt(0)
	global_store_dword v[5:6], v1, off offset:2048
.LBB0_51:
	s_or_b64 exec, exec, s[0:1]
.LBB0_52:
	s_and_saveexec_b64 s[0:1], s[6:7]
	s_cbranch_execnz .LBB0_54
; %bb.53:
	s_endpgm
.LBB0_54:
	s_add_u32 s0, s42, s28
	s_addc_u32 s1, s43, s29
	s_waitcnt lgkmcnt(0)
	global_store_dword v17, v2, s[0:1] offset:3072
	s_endpgm
.LBB0_55:
	global_load_dword v11, v[7:8], off
	s_or_b64 exec, exec, s[6:7]
	s_and_saveexec_b64 s[6:7], s[0:1]
	s_cbranch_execz .LBB0_13
.LBB0_56:
	global_load_dword v12, v[7:8], off offset:256
	s_or_b64 exec, exec, s[6:7]
                                        ; implicit-def: $vgpr13
	s_and_saveexec_b64 s[0:1], s[2:3]
	s_cbranch_execnz .LBB0_14
	s_branch .LBB0_15
.LBB0_57:
	s_waitcnt lgkmcnt(1)
	global_store_dword v[5:6], v3, off
	s_or_b64 exec, exec, s[4:5]
	s_and_saveexec_b64 s[4:5], s[0:1]
	s_cbranch_execz .LBB0_49
.LBB0_58:
	s_waitcnt lgkmcnt(1)
	global_store_dword v[5:6], v4, off offset:1024
	s_or_b64 exec, exec, s[4:5]
	s_and_saveexec_b64 s[0:1], s[2:3]
	s_cbranch_execnz .LBB0_50
	s_branch .LBB0_51
	.section	.rodata,"a",@progbits
	.p2align	6, 0x0
	.amdhsa_kernel _ZN7rocprim17ROCPRIM_304000_NS6detail28radix_sort_block_sort_kernelINS1_36wrapped_radix_sort_block_sort_configINS0_13kernel_configILj256ELj4ELj4294967295EEEiN2at4cuda3cub6detail10OpaqueTypeILi4EEEEELb1EPKiPiPKSB_PSB_NS0_19identity_decomposerEEEvT1_T2_T3_T4_jT5_jj
		.amdhsa_group_segment_fixed_size 4112
		.amdhsa_private_segment_fixed_size 0
		.amdhsa_kernarg_size 304
		.amdhsa_user_sgpr_count 6
		.amdhsa_user_sgpr_private_segment_buffer 1
		.amdhsa_user_sgpr_dispatch_ptr 0
		.amdhsa_user_sgpr_queue_ptr 0
		.amdhsa_user_sgpr_kernarg_segment_ptr 1
		.amdhsa_user_sgpr_dispatch_id 0
		.amdhsa_user_sgpr_flat_scratch_init 0
		.amdhsa_user_sgpr_private_segment_size 0
		.amdhsa_uses_dynamic_stack 0
		.amdhsa_system_sgpr_private_segment_wavefront_offset 0
		.amdhsa_system_sgpr_workgroup_id_x 1
		.amdhsa_system_sgpr_workgroup_id_y 0
		.amdhsa_system_sgpr_workgroup_id_z 0
		.amdhsa_system_sgpr_workgroup_info 0
		.amdhsa_system_vgpr_workitem_id 2
		.amdhsa_next_free_vgpr 39
		.amdhsa_next_free_sgpr 44
		.amdhsa_reserve_vcc 1
		.amdhsa_reserve_flat_scratch 0
		.amdhsa_float_round_mode_32 0
		.amdhsa_float_round_mode_16_64 0
		.amdhsa_float_denorm_mode_32 3
		.amdhsa_float_denorm_mode_16_64 3
		.amdhsa_dx10_clamp 1
		.amdhsa_ieee_mode 1
		.amdhsa_fp16_overflow 0
		.amdhsa_exception_fp_ieee_invalid_op 0
		.amdhsa_exception_fp_denorm_src 0
		.amdhsa_exception_fp_ieee_div_zero 0
		.amdhsa_exception_fp_ieee_overflow 0
		.amdhsa_exception_fp_ieee_underflow 0
		.amdhsa_exception_fp_ieee_inexact 0
		.amdhsa_exception_int_div_zero 0
	.end_amdhsa_kernel
	.section	.text._ZN7rocprim17ROCPRIM_304000_NS6detail28radix_sort_block_sort_kernelINS1_36wrapped_radix_sort_block_sort_configINS0_13kernel_configILj256ELj4ELj4294967295EEEiN2at4cuda3cub6detail10OpaqueTypeILi4EEEEELb1EPKiPiPKSB_PSB_NS0_19identity_decomposerEEEvT1_T2_T3_T4_jT5_jj,"axG",@progbits,_ZN7rocprim17ROCPRIM_304000_NS6detail28radix_sort_block_sort_kernelINS1_36wrapped_radix_sort_block_sort_configINS0_13kernel_configILj256ELj4ELj4294967295EEEiN2at4cuda3cub6detail10OpaqueTypeILi4EEEEELb1EPKiPiPKSB_PSB_NS0_19identity_decomposerEEEvT1_T2_T3_T4_jT5_jj,comdat
.Lfunc_end0:
	.size	_ZN7rocprim17ROCPRIM_304000_NS6detail28radix_sort_block_sort_kernelINS1_36wrapped_radix_sort_block_sort_configINS0_13kernel_configILj256ELj4ELj4294967295EEEiN2at4cuda3cub6detail10OpaqueTypeILi4EEEEELb1EPKiPiPKSB_PSB_NS0_19identity_decomposerEEEvT1_T2_T3_T4_jT5_jj, .Lfunc_end0-_ZN7rocprim17ROCPRIM_304000_NS6detail28radix_sort_block_sort_kernelINS1_36wrapped_radix_sort_block_sort_configINS0_13kernel_configILj256ELj4ELj4294967295EEEiN2at4cuda3cub6detail10OpaqueTypeILi4EEEEELb1EPKiPiPKSB_PSB_NS0_19identity_decomposerEEEvT1_T2_T3_T4_jT5_jj
                                        ; -- End function
	.set _ZN7rocprim17ROCPRIM_304000_NS6detail28radix_sort_block_sort_kernelINS1_36wrapped_radix_sort_block_sort_configINS0_13kernel_configILj256ELj4ELj4294967295EEEiN2at4cuda3cub6detail10OpaqueTypeILi4EEEEELb1EPKiPiPKSB_PSB_NS0_19identity_decomposerEEEvT1_T2_T3_T4_jT5_jj.num_vgpr, 39
	.set _ZN7rocprim17ROCPRIM_304000_NS6detail28radix_sort_block_sort_kernelINS1_36wrapped_radix_sort_block_sort_configINS0_13kernel_configILj256ELj4ELj4294967295EEEiN2at4cuda3cub6detail10OpaqueTypeILi4EEEEELb1EPKiPiPKSB_PSB_NS0_19identity_decomposerEEEvT1_T2_T3_T4_jT5_jj.num_agpr, 0
	.set _ZN7rocprim17ROCPRIM_304000_NS6detail28radix_sort_block_sort_kernelINS1_36wrapped_radix_sort_block_sort_configINS0_13kernel_configILj256ELj4ELj4294967295EEEiN2at4cuda3cub6detail10OpaqueTypeILi4EEEEELb1EPKiPiPKSB_PSB_NS0_19identity_decomposerEEEvT1_T2_T3_T4_jT5_jj.numbered_sgpr, 44
	.set _ZN7rocprim17ROCPRIM_304000_NS6detail28radix_sort_block_sort_kernelINS1_36wrapped_radix_sort_block_sort_configINS0_13kernel_configILj256ELj4ELj4294967295EEEiN2at4cuda3cub6detail10OpaqueTypeILi4EEEEELb1EPKiPiPKSB_PSB_NS0_19identity_decomposerEEEvT1_T2_T3_T4_jT5_jj.num_named_barrier, 0
	.set _ZN7rocprim17ROCPRIM_304000_NS6detail28radix_sort_block_sort_kernelINS1_36wrapped_radix_sort_block_sort_configINS0_13kernel_configILj256ELj4ELj4294967295EEEiN2at4cuda3cub6detail10OpaqueTypeILi4EEEEELb1EPKiPiPKSB_PSB_NS0_19identity_decomposerEEEvT1_T2_T3_T4_jT5_jj.private_seg_size, 0
	.set _ZN7rocprim17ROCPRIM_304000_NS6detail28radix_sort_block_sort_kernelINS1_36wrapped_radix_sort_block_sort_configINS0_13kernel_configILj256ELj4ELj4294967295EEEiN2at4cuda3cub6detail10OpaqueTypeILi4EEEEELb1EPKiPiPKSB_PSB_NS0_19identity_decomposerEEEvT1_T2_T3_T4_jT5_jj.uses_vcc, 1
	.set _ZN7rocprim17ROCPRIM_304000_NS6detail28radix_sort_block_sort_kernelINS1_36wrapped_radix_sort_block_sort_configINS0_13kernel_configILj256ELj4ELj4294967295EEEiN2at4cuda3cub6detail10OpaqueTypeILi4EEEEELb1EPKiPiPKSB_PSB_NS0_19identity_decomposerEEEvT1_T2_T3_T4_jT5_jj.uses_flat_scratch, 0
	.set _ZN7rocprim17ROCPRIM_304000_NS6detail28radix_sort_block_sort_kernelINS1_36wrapped_radix_sort_block_sort_configINS0_13kernel_configILj256ELj4ELj4294967295EEEiN2at4cuda3cub6detail10OpaqueTypeILi4EEEEELb1EPKiPiPKSB_PSB_NS0_19identity_decomposerEEEvT1_T2_T3_T4_jT5_jj.has_dyn_sized_stack, 0
	.set _ZN7rocprim17ROCPRIM_304000_NS6detail28radix_sort_block_sort_kernelINS1_36wrapped_radix_sort_block_sort_configINS0_13kernel_configILj256ELj4ELj4294967295EEEiN2at4cuda3cub6detail10OpaqueTypeILi4EEEEELb1EPKiPiPKSB_PSB_NS0_19identity_decomposerEEEvT1_T2_T3_T4_jT5_jj.has_recursion, 0
	.set _ZN7rocprim17ROCPRIM_304000_NS6detail28radix_sort_block_sort_kernelINS1_36wrapped_radix_sort_block_sort_configINS0_13kernel_configILj256ELj4ELj4294967295EEEiN2at4cuda3cub6detail10OpaqueTypeILi4EEEEELb1EPKiPiPKSB_PSB_NS0_19identity_decomposerEEEvT1_T2_T3_T4_jT5_jj.has_indirect_call, 0
	.section	.AMDGPU.csdata,"",@progbits
; Kernel info:
; codeLenInByte = 3636
; TotalNumSgprs: 48
; NumVgprs: 39
; ScratchSize: 0
; MemoryBound: 0
; FloatMode: 240
; IeeeMode: 1
; LDSByteSize: 4112 bytes/workgroup (compile time only)
; SGPRBlocks: 5
; VGPRBlocks: 9
; NumSGPRsForWavesPerEU: 48
; NumVGPRsForWavesPerEU: 39
; Occupancy: 6
; WaveLimiterHint : 1
; COMPUTE_PGM_RSRC2:SCRATCH_EN: 0
; COMPUTE_PGM_RSRC2:USER_SGPR: 6
; COMPUTE_PGM_RSRC2:TRAP_HANDLER: 0
; COMPUTE_PGM_RSRC2:TGID_X_EN: 1
; COMPUTE_PGM_RSRC2:TGID_Y_EN: 0
; COMPUTE_PGM_RSRC2:TGID_Z_EN: 0
; COMPUTE_PGM_RSRC2:TIDIG_COMP_CNT: 2
	.section	.text._ZN7rocprim17ROCPRIM_304000_NS6detail39device_merge_sort_compile_time_verifierINS1_36wrapped_merge_sort_block_sort_configINS1_28merge_sort_block_sort_configILj256ELj4ELNS0_20block_sort_algorithmE0EEEiN2at4cuda3cub6detail10OpaqueTypeILi4EEEEENS1_37wrapped_merge_sort_block_merge_configINS0_14default_configEiSC_EEEEvv,"axG",@progbits,_ZN7rocprim17ROCPRIM_304000_NS6detail39device_merge_sort_compile_time_verifierINS1_36wrapped_merge_sort_block_sort_configINS1_28merge_sort_block_sort_configILj256ELj4ELNS0_20block_sort_algorithmE0EEEiN2at4cuda3cub6detail10OpaqueTypeILi4EEEEENS1_37wrapped_merge_sort_block_merge_configINS0_14default_configEiSC_EEEEvv,comdat
	.protected	_ZN7rocprim17ROCPRIM_304000_NS6detail39device_merge_sort_compile_time_verifierINS1_36wrapped_merge_sort_block_sort_configINS1_28merge_sort_block_sort_configILj256ELj4ELNS0_20block_sort_algorithmE0EEEiN2at4cuda3cub6detail10OpaqueTypeILi4EEEEENS1_37wrapped_merge_sort_block_merge_configINS0_14default_configEiSC_EEEEvv ; -- Begin function _ZN7rocprim17ROCPRIM_304000_NS6detail39device_merge_sort_compile_time_verifierINS1_36wrapped_merge_sort_block_sort_configINS1_28merge_sort_block_sort_configILj256ELj4ELNS0_20block_sort_algorithmE0EEEiN2at4cuda3cub6detail10OpaqueTypeILi4EEEEENS1_37wrapped_merge_sort_block_merge_configINS0_14default_configEiSC_EEEEvv
	.globl	_ZN7rocprim17ROCPRIM_304000_NS6detail39device_merge_sort_compile_time_verifierINS1_36wrapped_merge_sort_block_sort_configINS1_28merge_sort_block_sort_configILj256ELj4ELNS0_20block_sort_algorithmE0EEEiN2at4cuda3cub6detail10OpaqueTypeILi4EEEEENS1_37wrapped_merge_sort_block_merge_configINS0_14default_configEiSC_EEEEvv
	.p2align	8
	.type	_ZN7rocprim17ROCPRIM_304000_NS6detail39device_merge_sort_compile_time_verifierINS1_36wrapped_merge_sort_block_sort_configINS1_28merge_sort_block_sort_configILj256ELj4ELNS0_20block_sort_algorithmE0EEEiN2at4cuda3cub6detail10OpaqueTypeILi4EEEEENS1_37wrapped_merge_sort_block_merge_configINS0_14default_configEiSC_EEEEvv,@function
_ZN7rocprim17ROCPRIM_304000_NS6detail39device_merge_sort_compile_time_verifierINS1_36wrapped_merge_sort_block_sort_configINS1_28merge_sort_block_sort_configILj256ELj4ELNS0_20block_sort_algorithmE0EEEiN2at4cuda3cub6detail10OpaqueTypeILi4EEEEENS1_37wrapped_merge_sort_block_merge_configINS0_14default_configEiSC_EEEEvv: ; @_ZN7rocprim17ROCPRIM_304000_NS6detail39device_merge_sort_compile_time_verifierINS1_36wrapped_merge_sort_block_sort_configINS1_28merge_sort_block_sort_configILj256ELj4ELNS0_20block_sort_algorithmE0EEEiN2at4cuda3cub6detail10OpaqueTypeILi4EEEEENS1_37wrapped_merge_sort_block_merge_configINS0_14default_configEiSC_EEEEvv
; %bb.0:
	s_endpgm
	.section	.rodata,"a",@progbits
	.p2align	6, 0x0
	.amdhsa_kernel _ZN7rocprim17ROCPRIM_304000_NS6detail39device_merge_sort_compile_time_verifierINS1_36wrapped_merge_sort_block_sort_configINS1_28merge_sort_block_sort_configILj256ELj4ELNS0_20block_sort_algorithmE0EEEiN2at4cuda3cub6detail10OpaqueTypeILi4EEEEENS1_37wrapped_merge_sort_block_merge_configINS0_14default_configEiSC_EEEEvv
		.amdhsa_group_segment_fixed_size 0
		.amdhsa_private_segment_fixed_size 0
		.amdhsa_kernarg_size 0
		.amdhsa_user_sgpr_count 4
		.amdhsa_user_sgpr_private_segment_buffer 1
		.amdhsa_user_sgpr_dispatch_ptr 0
		.amdhsa_user_sgpr_queue_ptr 0
		.amdhsa_user_sgpr_kernarg_segment_ptr 0
		.amdhsa_user_sgpr_dispatch_id 0
		.amdhsa_user_sgpr_flat_scratch_init 0
		.amdhsa_user_sgpr_private_segment_size 0
		.amdhsa_uses_dynamic_stack 0
		.amdhsa_system_sgpr_private_segment_wavefront_offset 0
		.amdhsa_system_sgpr_workgroup_id_x 1
		.amdhsa_system_sgpr_workgroup_id_y 0
		.amdhsa_system_sgpr_workgroup_id_z 0
		.amdhsa_system_sgpr_workgroup_info 0
		.amdhsa_system_vgpr_workitem_id 0
		.amdhsa_next_free_vgpr 1
		.amdhsa_next_free_sgpr 0
		.amdhsa_reserve_vcc 0
		.amdhsa_reserve_flat_scratch 0
		.amdhsa_float_round_mode_32 0
		.amdhsa_float_round_mode_16_64 0
		.amdhsa_float_denorm_mode_32 3
		.amdhsa_float_denorm_mode_16_64 3
		.amdhsa_dx10_clamp 1
		.amdhsa_ieee_mode 1
		.amdhsa_fp16_overflow 0
		.amdhsa_exception_fp_ieee_invalid_op 0
		.amdhsa_exception_fp_denorm_src 0
		.amdhsa_exception_fp_ieee_div_zero 0
		.amdhsa_exception_fp_ieee_overflow 0
		.amdhsa_exception_fp_ieee_underflow 0
		.amdhsa_exception_fp_ieee_inexact 0
		.amdhsa_exception_int_div_zero 0
	.end_amdhsa_kernel
	.section	.text._ZN7rocprim17ROCPRIM_304000_NS6detail39device_merge_sort_compile_time_verifierINS1_36wrapped_merge_sort_block_sort_configINS1_28merge_sort_block_sort_configILj256ELj4ELNS0_20block_sort_algorithmE0EEEiN2at4cuda3cub6detail10OpaqueTypeILi4EEEEENS1_37wrapped_merge_sort_block_merge_configINS0_14default_configEiSC_EEEEvv,"axG",@progbits,_ZN7rocprim17ROCPRIM_304000_NS6detail39device_merge_sort_compile_time_verifierINS1_36wrapped_merge_sort_block_sort_configINS1_28merge_sort_block_sort_configILj256ELj4ELNS0_20block_sort_algorithmE0EEEiN2at4cuda3cub6detail10OpaqueTypeILi4EEEEENS1_37wrapped_merge_sort_block_merge_configINS0_14default_configEiSC_EEEEvv,comdat
.Lfunc_end1:
	.size	_ZN7rocprim17ROCPRIM_304000_NS6detail39device_merge_sort_compile_time_verifierINS1_36wrapped_merge_sort_block_sort_configINS1_28merge_sort_block_sort_configILj256ELj4ELNS0_20block_sort_algorithmE0EEEiN2at4cuda3cub6detail10OpaqueTypeILi4EEEEENS1_37wrapped_merge_sort_block_merge_configINS0_14default_configEiSC_EEEEvv, .Lfunc_end1-_ZN7rocprim17ROCPRIM_304000_NS6detail39device_merge_sort_compile_time_verifierINS1_36wrapped_merge_sort_block_sort_configINS1_28merge_sort_block_sort_configILj256ELj4ELNS0_20block_sort_algorithmE0EEEiN2at4cuda3cub6detail10OpaqueTypeILi4EEEEENS1_37wrapped_merge_sort_block_merge_configINS0_14default_configEiSC_EEEEvv
                                        ; -- End function
	.set _ZN7rocprim17ROCPRIM_304000_NS6detail39device_merge_sort_compile_time_verifierINS1_36wrapped_merge_sort_block_sort_configINS1_28merge_sort_block_sort_configILj256ELj4ELNS0_20block_sort_algorithmE0EEEiN2at4cuda3cub6detail10OpaqueTypeILi4EEEEENS1_37wrapped_merge_sort_block_merge_configINS0_14default_configEiSC_EEEEvv.num_vgpr, 0
	.set _ZN7rocprim17ROCPRIM_304000_NS6detail39device_merge_sort_compile_time_verifierINS1_36wrapped_merge_sort_block_sort_configINS1_28merge_sort_block_sort_configILj256ELj4ELNS0_20block_sort_algorithmE0EEEiN2at4cuda3cub6detail10OpaqueTypeILi4EEEEENS1_37wrapped_merge_sort_block_merge_configINS0_14default_configEiSC_EEEEvv.num_agpr, 0
	.set _ZN7rocprim17ROCPRIM_304000_NS6detail39device_merge_sort_compile_time_verifierINS1_36wrapped_merge_sort_block_sort_configINS1_28merge_sort_block_sort_configILj256ELj4ELNS0_20block_sort_algorithmE0EEEiN2at4cuda3cub6detail10OpaqueTypeILi4EEEEENS1_37wrapped_merge_sort_block_merge_configINS0_14default_configEiSC_EEEEvv.numbered_sgpr, 0
	.set _ZN7rocprim17ROCPRIM_304000_NS6detail39device_merge_sort_compile_time_verifierINS1_36wrapped_merge_sort_block_sort_configINS1_28merge_sort_block_sort_configILj256ELj4ELNS0_20block_sort_algorithmE0EEEiN2at4cuda3cub6detail10OpaqueTypeILi4EEEEENS1_37wrapped_merge_sort_block_merge_configINS0_14default_configEiSC_EEEEvv.num_named_barrier, 0
	.set _ZN7rocprim17ROCPRIM_304000_NS6detail39device_merge_sort_compile_time_verifierINS1_36wrapped_merge_sort_block_sort_configINS1_28merge_sort_block_sort_configILj256ELj4ELNS0_20block_sort_algorithmE0EEEiN2at4cuda3cub6detail10OpaqueTypeILi4EEEEENS1_37wrapped_merge_sort_block_merge_configINS0_14default_configEiSC_EEEEvv.private_seg_size, 0
	.set _ZN7rocprim17ROCPRIM_304000_NS6detail39device_merge_sort_compile_time_verifierINS1_36wrapped_merge_sort_block_sort_configINS1_28merge_sort_block_sort_configILj256ELj4ELNS0_20block_sort_algorithmE0EEEiN2at4cuda3cub6detail10OpaqueTypeILi4EEEEENS1_37wrapped_merge_sort_block_merge_configINS0_14default_configEiSC_EEEEvv.uses_vcc, 0
	.set _ZN7rocprim17ROCPRIM_304000_NS6detail39device_merge_sort_compile_time_verifierINS1_36wrapped_merge_sort_block_sort_configINS1_28merge_sort_block_sort_configILj256ELj4ELNS0_20block_sort_algorithmE0EEEiN2at4cuda3cub6detail10OpaqueTypeILi4EEEEENS1_37wrapped_merge_sort_block_merge_configINS0_14default_configEiSC_EEEEvv.uses_flat_scratch, 0
	.set _ZN7rocprim17ROCPRIM_304000_NS6detail39device_merge_sort_compile_time_verifierINS1_36wrapped_merge_sort_block_sort_configINS1_28merge_sort_block_sort_configILj256ELj4ELNS0_20block_sort_algorithmE0EEEiN2at4cuda3cub6detail10OpaqueTypeILi4EEEEENS1_37wrapped_merge_sort_block_merge_configINS0_14default_configEiSC_EEEEvv.has_dyn_sized_stack, 0
	.set _ZN7rocprim17ROCPRIM_304000_NS6detail39device_merge_sort_compile_time_verifierINS1_36wrapped_merge_sort_block_sort_configINS1_28merge_sort_block_sort_configILj256ELj4ELNS0_20block_sort_algorithmE0EEEiN2at4cuda3cub6detail10OpaqueTypeILi4EEEEENS1_37wrapped_merge_sort_block_merge_configINS0_14default_configEiSC_EEEEvv.has_recursion, 0
	.set _ZN7rocprim17ROCPRIM_304000_NS6detail39device_merge_sort_compile_time_verifierINS1_36wrapped_merge_sort_block_sort_configINS1_28merge_sort_block_sort_configILj256ELj4ELNS0_20block_sort_algorithmE0EEEiN2at4cuda3cub6detail10OpaqueTypeILi4EEEEENS1_37wrapped_merge_sort_block_merge_configINS0_14default_configEiSC_EEEEvv.has_indirect_call, 0
	.section	.AMDGPU.csdata,"",@progbits
; Kernel info:
; codeLenInByte = 4
; TotalNumSgprs: 4
; NumVgprs: 0
; ScratchSize: 0
; MemoryBound: 0
; FloatMode: 240
; IeeeMode: 1
; LDSByteSize: 0 bytes/workgroup (compile time only)
; SGPRBlocks: 0
; VGPRBlocks: 0
; NumSGPRsForWavesPerEU: 4
; NumVGPRsForWavesPerEU: 1
; Occupancy: 10
; WaveLimiterHint : 0
; COMPUTE_PGM_RSRC2:SCRATCH_EN: 0
; COMPUTE_PGM_RSRC2:USER_SGPR: 4
; COMPUTE_PGM_RSRC2:TRAP_HANDLER: 0
; COMPUTE_PGM_RSRC2:TGID_X_EN: 1
; COMPUTE_PGM_RSRC2:TGID_Y_EN: 0
; COMPUTE_PGM_RSRC2:TGID_Z_EN: 0
; COMPUTE_PGM_RSRC2:TIDIG_COMP_CNT: 0
	.section	.text._ZN7rocprim17ROCPRIM_304000_NS6detail45device_block_merge_mergepath_partition_kernelINS1_37wrapped_merge_sort_block_merge_configINS0_14default_configEiN2at4cuda3cub6detail10OpaqueTypeILi4EEEEEPijNS1_19radix_merge_compareILb1ELb0EiNS0_19identity_decomposerEEEEEvT0_T1_jPSH_T2_SH_,"axG",@progbits,_ZN7rocprim17ROCPRIM_304000_NS6detail45device_block_merge_mergepath_partition_kernelINS1_37wrapped_merge_sort_block_merge_configINS0_14default_configEiN2at4cuda3cub6detail10OpaqueTypeILi4EEEEEPijNS1_19radix_merge_compareILb1ELb0EiNS0_19identity_decomposerEEEEEvT0_T1_jPSH_T2_SH_,comdat
	.protected	_ZN7rocprim17ROCPRIM_304000_NS6detail45device_block_merge_mergepath_partition_kernelINS1_37wrapped_merge_sort_block_merge_configINS0_14default_configEiN2at4cuda3cub6detail10OpaqueTypeILi4EEEEEPijNS1_19radix_merge_compareILb1ELb0EiNS0_19identity_decomposerEEEEEvT0_T1_jPSH_T2_SH_ ; -- Begin function _ZN7rocprim17ROCPRIM_304000_NS6detail45device_block_merge_mergepath_partition_kernelINS1_37wrapped_merge_sort_block_merge_configINS0_14default_configEiN2at4cuda3cub6detail10OpaqueTypeILi4EEEEEPijNS1_19radix_merge_compareILb1ELb0EiNS0_19identity_decomposerEEEEEvT0_T1_jPSH_T2_SH_
	.globl	_ZN7rocprim17ROCPRIM_304000_NS6detail45device_block_merge_mergepath_partition_kernelINS1_37wrapped_merge_sort_block_merge_configINS0_14default_configEiN2at4cuda3cub6detail10OpaqueTypeILi4EEEEEPijNS1_19radix_merge_compareILb1ELb0EiNS0_19identity_decomposerEEEEEvT0_T1_jPSH_T2_SH_
	.p2align	8
	.type	_ZN7rocprim17ROCPRIM_304000_NS6detail45device_block_merge_mergepath_partition_kernelINS1_37wrapped_merge_sort_block_merge_configINS0_14default_configEiN2at4cuda3cub6detail10OpaqueTypeILi4EEEEEPijNS1_19radix_merge_compareILb1ELb0EiNS0_19identity_decomposerEEEEEvT0_T1_jPSH_T2_SH_,@function
_ZN7rocprim17ROCPRIM_304000_NS6detail45device_block_merge_mergepath_partition_kernelINS1_37wrapped_merge_sort_block_merge_configINS0_14default_configEiN2at4cuda3cub6detail10OpaqueTypeILi4EEEEEPijNS1_19radix_merge_compareILb1ELb0EiNS0_19identity_decomposerEEEEEvT0_T1_jPSH_T2_SH_: ; @_ZN7rocprim17ROCPRIM_304000_NS6detail45device_block_merge_mergepath_partition_kernelINS1_37wrapped_merge_sort_block_merge_configINS0_14default_configEiN2at4cuda3cub6detail10OpaqueTypeILi4EEEEEPijNS1_19radix_merge_compareILb1ELb0EiNS0_19identity_decomposerEEEEEvT0_T1_jPSH_T2_SH_
; %bb.0:
	s_load_dwordx2 s[0:1], s[4:5], 0x8
	v_lshl_or_b32 v0, s6, 7, v0
	s_waitcnt lgkmcnt(0)
	v_cmp_gt_u32_e32 vcc, s1, v0
	s_and_saveexec_b64 s[2:3], vcc
	s_cbranch_execz .LBB2_6
; %bb.1:
	s_load_dword s1, s[4:5], 0x1c
	s_waitcnt lgkmcnt(0)
	s_lshr_b32 s2, s1, 9
	s_and_b32 s2, s2, 0x7ffffe
	s_add_i32 s3, s2, -1
	s_sub_i32 s2, 0, s2
	v_and_b32_e32 v1, s2, v0
	v_lshlrev_b32_e32 v3, 10, v1
	v_min_u32_e32 v1, s0, v3
	v_add_u32_e32 v3, s1, v3
	v_min_u32_e32 v3, s0, v3
	v_add_u32_e32 v4, s1, v3
	v_and_b32_e32 v2, s3, v0
	v_min_u32_e32 v4, s0, v4
	v_lshlrev_b32_e32 v2, 10, v2
	v_sub_u32_e32 v5, v4, v1
	v_min_u32_e32 v6, v5, v2
	v_sub_u32_e32 v2, v3, v1
	v_sub_u32_e32 v4, v4, v3
	v_sub_u32_e64 v5, v6, v4 clamp
	v_min_u32_e32 v7, v6, v2
	v_cmp_lt_u32_e32 vcc, v5, v7
	s_and_saveexec_b64 s[0:1], vcc
	s_cbranch_execz .LBB2_5
; %bb.2:
	s_load_dwordx2 s[2:3], s[4:5], 0x0
	v_mov_b32_e32 v4, 0
	v_mov_b32_e32 v2, v4
	v_lshlrev_b64 v[8:9], 2, v[1:2]
	s_waitcnt lgkmcnt(0)
	v_mov_b32_e32 v11, s3
	v_add_co_u32_e32 v2, vcc, s2, v8
	v_addc_co_u32_e32 v8, vcc, v11, v9, vcc
	v_lshlrev_b64 v[9:10], 2, v[3:4]
	v_add_co_u32_e32 v9, vcc, s2, v9
	v_addc_co_u32_e32 v10, vcc, v11, v10, vcc
	s_mov_b64 s[2:3], 0
.LBB2_3:                                ; =>This Inner Loop Header: Depth=1
	v_add_u32_e32 v3, v7, v5
	v_lshrrev_b32_e32 v3, 1, v3
	v_lshlrev_b64 v[13:14], 2, v[3:4]
	v_mov_b32_e32 v12, v4
	v_xad_u32 v11, v3, -1, v6
	v_lshlrev_b64 v[11:12], 2, v[11:12]
	v_add_co_u32_e32 v13, vcc, v2, v13
	v_addc_co_u32_e32 v14, vcc, v8, v14, vcc
	v_add_co_u32_e32 v11, vcc, v9, v11
	v_addc_co_u32_e32 v12, vcc, v10, v12, vcc
	global_load_dword v15, v[13:14], off
	global_load_dword v16, v[11:12], off
	v_add_u32_e32 v11, 1, v3
	s_waitcnt vmcnt(0)
	v_cmp_gt_i32_e32 vcc, v16, v15
	v_cndmask_b32_e32 v7, v7, v3, vcc
	v_cndmask_b32_e32 v5, v11, v5, vcc
	v_cmp_ge_u32_e32 vcc, v5, v7
	s_or_b64 s[2:3], vcc, s[2:3]
	s_andn2_b64 exec, exec, s[2:3]
	s_cbranch_execnz .LBB2_3
; %bb.4:
	s_or_b64 exec, exec, s[2:3]
.LBB2_5:
	s_or_b64 exec, exec, s[0:1]
	s_load_dwordx2 s[0:1], s[4:5], 0x10
	v_add_u32_e32 v2, v5, v1
	v_mov_b32_e32 v1, 0
	v_lshlrev_b64 v[0:1], 2, v[0:1]
	s_waitcnt lgkmcnt(0)
	v_mov_b32_e32 v3, s1
	v_add_co_u32_e32 v0, vcc, s0, v0
	v_addc_co_u32_e32 v1, vcc, v3, v1, vcc
	global_store_dword v[0:1], v2, off
.LBB2_6:
	s_endpgm
	.section	.rodata,"a",@progbits
	.p2align	6, 0x0
	.amdhsa_kernel _ZN7rocprim17ROCPRIM_304000_NS6detail45device_block_merge_mergepath_partition_kernelINS1_37wrapped_merge_sort_block_merge_configINS0_14default_configEiN2at4cuda3cub6detail10OpaqueTypeILi4EEEEEPijNS1_19radix_merge_compareILb1ELb0EiNS0_19identity_decomposerEEEEEvT0_T1_jPSH_T2_SH_
		.amdhsa_group_segment_fixed_size 0
		.amdhsa_private_segment_fixed_size 0
		.amdhsa_kernarg_size 32
		.amdhsa_user_sgpr_count 6
		.amdhsa_user_sgpr_private_segment_buffer 1
		.amdhsa_user_sgpr_dispatch_ptr 0
		.amdhsa_user_sgpr_queue_ptr 0
		.amdhsa_user_sgpr_kernarg_segment_ptr 1
		.amdhsa_user_sgpr_dispatch_id 0
		.amdhsa_user_sgpr_flat_scratch_init 0
		.amdhsa_user_sgpr_private_segment_size 0
		.amdhsa_uses_dynamic_stack 0
		.amdhsa_system_sgpr_private_segment_wavefront_offset 0
		.amdhsa_system_sgpr_workgroup_id_x 1
		.amdhsa_system_sgpr_workgroup_id_y 0
		.amdhsa_system_sgpr_workgroup_id_z 0
		.amdhsa_system_sgpr_workgroup_info 0
		.amdhsa_system_vgpr_workitem_id 0
		.amdhsa_next_free_vgpr 17
		.amdhsa_next_free_sgpr 7
		.amdhsa_reserve_vcc 1
		.amdhsa_reserve_flat_scratch 0
		.amdhsa_float_round_mode_32 0
		.amdhsa_float_round_mode_16_64 0
		.amdhsa_float_denorm_mode_32 3
		.amdhsa_float_denorm_mode_16_64 3
		.amdhsa_dx10_clamp 1
		.amdhsa_ieee_mode 1
		.amdhsa_fp16_overflow 0
		.amdhsa_exception_fp_ieee_invalid_op 0
		.amdhsa_exception_fp_denorm_src 0
		.amdhsa_exception_fp_ieee_div_zero 0
		.amdhsa_exception_fp_ieee_overflow 0
		.amdhsa_exception_fp_ieee_underflow 0
		.amdhsa_exception_fp_ieee_inexact 0
		.amdhsa_exception_int_div_zero 0
	.end_amdhsa_kernel
	.section	.text._ZN7rocprim17ROCPRIM_304000_NS6detail45device_block_merge_mergepath_partition_kernelINS1_37wrapped_merge_sort_block_merge_configINS0_14default_configEiN2at4cuda3cub6detail10OpaqueTypeILi4EEEEEPijNS1_19radix_merge_compareILb1ELb0EiNS0_19identity_decomposerEEEEEvT0_T1_jPSH_T2_SH_,"axG",@progbits,_ZN7rocprim17ROCPRIM_304000_NS6detail45device_block_merge_mergepath_partition_kernelINS1_37wrapped_merge_sort_block_merge_configINS0_14default_configEiN2at4cuda3cub6detail10OpaqueTypeILi4EEEEEPijNS1_19radix_merge_compareILb1ELb0EiNS0_19identity_decomposerEEEEEvT0_T1_jPSH_T2_SH_,comdat
.Lfunc_end2:
	.size	_ZN7rocprim17ROCPRIM_304000_NS6detail45device_block_merge_mergepath_partition_kernelINS1_37wrapped_merge_sort_block_merge_configINS0_14default_configEiN2at4cuda3cub6detail10OpaqueTypeILi4EEEEEPijNS1_19radix_merge_compareILb1ELb0EiNS0_19identity_decomposerEEEEEvT0_T1_jPSH_T2_SH_, .Lfunc_end2-_ZN7rocprim17ROCPRIM_304000_NS6detail45device_block_merge_mergepath_partition_kernelINS1_37wrapped_merge_sort_block_merge_configINS0_14default_configEiN2at4cuda3cub6detail10OpaqueTypeILi4EEEEEPijNS1_19radix_merge_compareILb1ELb0EiNS0_19identity_decomposerEEEEEvT0_T1_jPSH_T2_SH_
                                        ; -- End function
	.set _ZN7rocprim17ROCPRIM_304000_NS6detail45device_block_merge_mergepath_partition_kernelINS1_37wrapped_merge_sort_block_merge_configINS0_14default_configEiN2at4cuda3cub6detail10OpaqueTypeILi4EEEEEPijNS1_19radix_merge_compareILb1ELb0EiNS0_19identity_decomposerEEEEEvT0_T1_jPSH_T2_SH_.num_vgpr, 17
	.set _ZN7rocprim17ROCPRIM_304000_NS6detail45device_block_merge_mergepath_partition_kernelINS1_37wrapped_merge_sort_block_merge_configINS0_14default_configEiN2at4cuda3cub6detail10OpaqueTypeILi4EEEEEPijNS1_19radix_merge_compareILb1ELb0EiNS0_19identity_decomposerEEEEEvT0_T1_jPSH_T2_SH_.num_agpr, 0
	.set _ZN7rocprim17ROCPRIM_304000_NS6detail45device_block_merge_mergepath_partition_kernelINS1_37wrapped_merge_sort_block_merge_configINS0_14default_configEiN2at4cuda3cub6detail10OpaqueTypeILi4EEEEEPijNS1_19radix_merge_compareILb1ELb0EiNS0_19identity_decomposerEEEEEvT0_T1_jPSH_T2_SH_.numbered_sgpr, 7
	.set _ZN7rocprim17ROCPRIM_304000_NS6detail45device_block_merge_mergepath_partition_kernelINS1_37wrapped_merge_sort_block_merge_configINS0_14default_configEiN2at4cuda3cub6detail10OpaqueTypeILi4EEEEEPijNS1_19radix_merge_compareILb1ELb0EiNS0_19identity_decomposerEEEEEvT0_T1_jPSH_T2_SH_.num_named_barrier, 0
	.set _ZN7rocprim17ROCPRIM_304000_NS6detail45device_block_merge_mergepath_partition_kernelINS1_37wrapped_merge_sort_block_merge_configINS0_14default_configEiN2at4cuda3cub6detail10OpaqueTypeILi4EEEEEPijNS1_19radix_merge_compareILb1ELb0EiNS0_19identity_decomposerEEEEEvT0_T1_jPSH_T2_SH_.private_seg_size, 0
	.set _ZN7rocprim17ROCPRIM_304000_NS6detail45device_block_merge_mergepath_partition_kernelINS1_37wrapped_merge_sort_block_merge_configINS0_14default_configEiN2at4cuda3cub6detail10OpaqueTypeILi4EEEEEPijNS1_19radix_merge_compareILb1ELb0EiNS0_19identity_decomposerEEEEEvT0_T1_jPSH_T2_SH_.uses_vcc, 1
	.set _ZN7rocprim17ROCPRIM_304000_NS6detail45device_block_merge_mergepath_partition_kernelINS1_37wrapped_merge_sort_block_merge_configINS0_14default_configEiN2at4cuda3cub6detail10OpaqueTypeILi4EEEEEPijNS1_19radix_merge_compareILb1ELb0EiNS0_19identity_decomposerEEEEEvT0_T1_jPSH_T2_SH_.uses_flat_scratch, 0
	.set _ZN7rocprim17ROCPRIM_304000_NS6detail45device_block_merge_mergepath_partition_kernelINS1_37wrapped_merge_sort_block_merge_configINS0_14default_configEiN2at4cuda3cub6detail10OpaqueTypeILi4EEEEEPijNS1_19radix_merge_compareILb1ELb0EiNS0_19identity_decomposerEEEEEvT0_T1_jPSH_T2_SH_.has_dyn_sized_stack, 0
	.set _ZN7rocprim17ROCPRIM_304000_NS6detail45device_block_merge_mergepath_partition_kernelINS1_37wrapped_merge_sort_block_merge_configINS0_14default_configEiN2at4cuda3cub6detail10OpaqueTypeILi4EEEEEPijNS1_19radix_merge_compareILb1ELb0EiNS0_19identity_decomposerEEEEEvT0_T1_jPSH_T2_SH_.has_recursion, 0
	.set _ZN7rocprim17ROCPRIM_304000_NS6detail45device_block_merge_mergepath_partition_kernelINS1_37wrapped_merge_sort_block_merge_configINS0_14default_configEiN2at4cuda3cub6detail10OpaqueTypeILi4EEEEEPijNS1_19radix_merge_compareILb1ELb0EiNS0_19identity_decomposerEEEEEvT0_T1_jPSH_T2_SH_.has_indirect_call, 0
	.section	.AMDGPU.csdata,"",@progbits
; Kernel info:
; codeLenInByte = 364
; TotalNumSgprs: 11
; NumVgprs: 17
; ScratchSize: 0
; MemoryBound: 0
; FloatMode: 240
; IeeeMode: 1
; LDSByteSize: 0 bytes/workgroup (compile time only)
; SGPRBlocks: 1
; VGPRBlocks: 4
; NumSGPRsForWavesPerEU: 11
; NumVGPRsForWavesPerEU: 17
; Occupancy: 10
; WaveLimiterHint : 0
; COMPUTE_PGM_RSRC2:SCRATCH_EN: 0
; COMPUTE_PGM_RSRC2:USER_SGPR: 6
; COMPUTE_PGM_RSRC2:TRAP_HANDLER: 0
; COMPUTE_PGM_RSRC2:TGID_X_EN: 1
; COMPUTE_PGM_RSRC2:TGID_Y_EN: 0
; COMPUTE_PGM_RSRC2:TGID_Z_EN: 0
; COMPUTE_PGM_RSRC2:TIDIG_COMP_CNT: 0
	.section	.text._ZN7rocprim17ROCPRIM_304000_NS6detail35device_block_merge_mergepath_kernelINS1_37wrapped_merge_sort_block_merge_configINS0_14default_configEiN2at4cuda3cub6detail10OpaqueTypeILi4EEEEEPiSC_PSA_SD_jNS1_19radix_merge_compareILb1ELb0EiNS0_19identity_decomposerEEEEEvT0_T1_T2_T3_T4_SL_jT5_PKSL_NS1_7vsmem_tE,"axG",@progbits,_ZN7rocprim17ROCPRIM_304000_NS6detail35device_block_merge_mergepath_kernelINS1_37wrapped_merge_sort_block_merge_configINS0_14default_configEiN2at4cuda3cub6detail10OpaqueTypeILi4EEEEEPiSC_PSA_SD_jNS1_19radix_merge_compareILb1ELb0EiNS0_19identity_decomposerEEEEEvT0_T1_T2_T3_T4_SL_jT5_PKSL_NS1_7vsmem_tE,comdat
	.protected	_ZN7rocprim17ROCPRIM_304000_NS6detail35device_block_merge_mergepath_kernelINS1_37wrapped_merge_sort_block_merge_configINS0_14default_configEiN2at4cuda3cub6detail10OpaqueTypeILi4EEEEEPiSC_PSA_SD_jNS1_19radix_merge_compareILb1ELb0EiNS0_19identity_decomposerEEEEEvT0_T1_T2_T3_T4_SL_jT5_PKSL_NS1_7vsmem_tE ; -- Begin function _ZN7rocprim17ROCPRIM_304000_NS6detail35device_block_merge_mergepath_kernelINS1_37wrapped_merge_sort_block_merge_configINS0_14default_configEiN2at4cuda3cub6detail10OpaqueTypeILi4EEEEEPiSC_PSA_SD_jNS1_19radix_merge_compareILb1ELb0EiNS0_19identity_decomposerEEEEEvT0_T1_T2_T3_T4_SL_jT5_PKSL_NS1_7vsmem_tE
	.globl	_ZN7rocprim17ROCPRIM_304000_NS6detail35device_block_merge_mergepath_kernelINS1_37wrapped_merge_sort_block_merge_configINS0_14default_configEiN2at4cuda3cub6detail10OpaqueTypeILi4EEEEEPiSC_PSA_SD_jNS1_19radix_merge_compareILb1ELb0EiNS0_19identity_decomposerEEEEEvT0_T1_T2_T3_T4_SL_jT5_PKSL_NS1_7vsmem_tE
	.p2align	8
	.type	_ZN7rocprim17ROCPRIM_304000_NS6detail35device_block_merge_mergepath_kernelINS1_37wrapped_merge_sort_block_merge_configINS0_14default_configEiN2at4cuda3cub6detail10OpaqueTypeILi4EEEEEPiSC_PSA_SD_jNS1_19radix_merge_compareILb1ELb0EiNS0_19identity_decomposerEEEEEvT0_T1_T2_T3_T4_SL_jT5_PKSL_NS1_7vsmem_tE,@function
_ZN7rocprim17ROCPRIM_304000_NS6detail35device_block_merge_mergepath_kernelINS1_37wrapped_merge_sort_block_merge_configINS0_14default_configEiN2at4cuda3cub6detail10OpaqueTypeILi4EEEEEPiSC_PSA_SD_jNS1_19radix_merge_compareILb1ELb0EiNS0_19identity_decomposerEEEEEvT0_T1_T2_T3_T4_SL_jT5_PKSL_NS1_7vsmem_tE: ; @_ZN7rocprim17ROCPRIM_304000_NS6detail35device_block_merge_mergepath_kernelINS1_37wrapped_merge_sort_block_merge_configINS0_14default_configEiN2at4cuda3cub6detail10OpaqueTypeILi4EEEEEPiSC_PSA_SD_jNS1_19radix_merge_compareILb1ELb0EiNS0_19identity_decomposerEEEEEvT0_T1_T2_T3_T4_SL_jT5_PKSL_NS1_7vsmem_tE
; %bb.0:
	s_load_dwordx2 s[10:11], s[4:5], 0x40
	s_load_dwordx4 s[20:23], s[4:5], 0x20
	s_add_u32 s2, s4, 64
	s_addc_u32 s3, s5, 0
	s_waitcnt lgkmcnt(0)
	s_mul_i32 s0, s11, s8
	s_add_i32 s0, s0, s7
	s_mul_i32 s0, s0, s10
	s_add_i32 s0, s0, s6
	s_cmp_ge_u32 s0, s22
	s_cbranch_scc1 .LBB3_103
; %bb.1:
	s_load_dwordx8 s[12:19], s[4:5], 0x0
	s_load_dwordx2 s[8:9], s[4:5], 0x30
	s_lshr_b32 s11, s20, 10
	s_cmp_lg_u32 s0, s11
	s_mov_b32 s1, 0
	s_cselect_b64 s[24:25], -1, 0
	s_lshl_b64 s[4:5], s[0:1], 2
	s_waitcnt lgkmcnt(0)
	s_add_u32 s4, s8, s4
	s_addc_u32 s5, s9, s5
	s_load_dwordx2 s[26:27], s[4:5], 0x0
	s_lshr_b32 s4, s21, 9
	s_and_b32 s4, s4, 0x7ffffe
	s_sub_i32 s4, 0, s4
	s_and_b32 s5, s0, s4
	s_lshl_b32 s7, s5, 10
	s_lshl_b32 s22, s0, 10
	;; [unrolled: 1-line block ×3, first 2 shown]
	s_sub_i32 s8, s22, s7
	s_add_i32 s5, s5, s21
	s_add_i32 s8, s5, s8
	s_waitcnt lgkmcnt(0)
	s_sub_i32 s9, s8, s26
	s_sub_i32 s8, s8, s27
	;; [unrolled: 1-line block ×3, first 2 shown]
	s_min_u32 s28, s20, s9
	s_addk_i32 s8, 0x400
	s_or_b32 s4, s0, s4
	s_min_u32 s7, s20, s5
	s_add_i32 s5, s5, s21
	s_cmp_eq_u32 s4, -1
	s_cselect_b32 s4, s5, s8
	s_cselect_b32 s5, s7, s27
	s_min_u32 s4, s4, s20
	s_mov_b32 s27, s1
	s_sub_i32 s23, s5, s26
	s_sub_i32 s33, s4, s28
	s_lshl_b64 s[30:31], s[26:27], 2
	s_add_u32 s5, s12, s30
	s_mov_b32 s29, s1
	s_addc_u32 s7, s13, s31
	s_lshl_b64 s[34:35], s[28:29], 2
	s_add_u32 s4, s12, s34
	v_mov_b32_e32 v10, 0
	global_load_dword v1, v10, s[2:3] offset:14
	s_addc_u32 s8, s13, s35
	s_cmp_lt_u32 s6, s10
	s_cselect_b32 s1, 12, 18
	s_add_u32 s2, s2, s1
	s_addc_u32 s3, s3, 0
	global_load_ushort v2, v10, s[2:3]
	s_cmp_eq_u32 s0, s11
	v_cmp_gt_u32_e32 vcc, s23, v0
	v_lshlrev_b32_e32 v13, 2, v0
	s_waitcnt vmcnt(1)
	v_lshrrev_b32_e32 v3, 16, v1
	v_and_b32_e32 v1, 0xffff, v1
	v_mul_lo_u32 v1, v1, v3
	s_waitcnt vmcnt(0)
	v_mul_lo_u32 v11, v1, v2
	v_add_u32_e32 v9, v11, v0
	s_cbranch_scc1 .LBB3_3
; %bb.2:
	v_mov_b32_e32 v1, s7
	v_add_co_u32_e64 v3, s[0:1], s5, v13
	v_subrev_u32_e32 v2, s23, v0
	v_addc_co_u32_e64 v1, s[0:1], 0, v1, s[0:1]
	v_lshlrev_b32_e32 v2, 2, v2
	v_mov_b32_e32 v4, s8
	v_add_co_u32_e64 v5, s[0:1], s4, v2
	v_addc_co_u32_e64 v2, s[0:1], 0, v4, s[0:1]
	v_cndmask_b32_e32 v2, v2, v1, vcc
	v_cndmask_b32_e32 v1, v5, v3, vcc
	global_load_dword v1, v[1:2], off
	v_lshlrev_b64 v[2:3], 2, v[9:10]
	v_mov_b32_e32 v4, s7
	v_add_co_u32_e32 v5, vcc, s5, v2
	v_addc_co_u32_e32 v4, vcc, v4, v3, vcc
	v_subrev_co_u32_e32 v2, vcc, s23, v9
	v_mov_b32_e32 v3, v10
	v_lshlrev_b64 v[2:3], 2, v[2:3]
	v_mov_b32_e32 v6, s8
	v_add_co_u32_e64 v2, s[0:1], s4, v2
	v_addc_co_u32_e64 v3, s[0:1], v6, v3, s[0:1]
	v_cndmask_b32_e32 v3, v3, v4, vcc
	v_cndmask_b32_e32 v2, v2, v5, vcc
	v_add_u32_e32 v4, v9, v11
	v_mov_b32_e32 v5, v10
	v_lshlrev_b64 v[5:6], 2, v[4:5]
	global_load_dword v2, v[2:3], off
	v_mov_b32_e32 v3, s7
	v_add_co_u32_e32 v7, vcc, s5, v5
	v_addc_co_u32_e32 v3, vcc, v3, v6, vcc
	v_subrev_co_u32_e32 v5, vcc, s23, v4
	v_mov_b32_e32 v6, v10
	v_lshlrev_b64 v[5:6], 2, v[5:6]
	v_mov_b32_e32 v8, s8
	v_add_co_u32_e64 v5, s[0:1], s4, v5
	v_addc_co_u32_e64 v6, s[0:1], v8, v6, s[0:1]
	v_cndmask_b32_e32 v6, v6, v3, vcc
	v_cndmask_b32_e32 v5, v5, v7, vcc
	global_load_dword v3, v[5:6], off
	v_add_u32_e32 v5, v4, v11
	v_mov_b32_e32 v6, v10
	v_lshlrev_b64 v[6:7], 2, v[5:6]
	v_mov_b32_e32 v4, s7
	v_add_co_u32_e32 v8, vcc, s5, v6
	v_addc_co_u32_e32 v4, vcc, v4, v7, vcc
	v_subrev_co_u32_e32 v6, vcc, s23, v5
	v_mov_b32_e32 v7, v10
	v_lshlrev_b64 v[6:7], 2, v[6:7]
	v_mov_b32_e32 v12, s8
	v_add_co_u32_e64 v6, s[0:1], s4, v6
	v_addc_co_u32_e64 v7, s[0:1], v12, v7, s[0:1]
	v_cndmask_b32_e32 v7, v7, v4, vcc
	v_cndmask_b32_e32 v6, v6, v8, vcc
	global_load_dword v4, v[6:7], off
	v_add_u32_e32 v6, v5, v11
	v_mov_b32_e32 v7, v10
	v_lshlrev_b64 v[7:8], 2, v[6:7]
	;; [unrolled: 15-line block ×4, first 2 shown]
	v_mov_b32_e32 v12, s7
	v_add_co_u32_e32 v15, vcc, s5, v7
	v_addc_co_u32_e32 v12, vcc, v12, v8, vcc
	v_subrev_co_u32_e32 v7, vcc, s23, v14
	v_mov_b32_e32 v8, v10
	v_lshlrev_b64 v[7:8], 2, v[7:8]
	v_mov_b32_e32 v16, s8
	v_add_co_u32_e64 v7, s[0:1], s4, v7
	v_cndmask_b32_e32 v7, v7, v15, vcc
	v_add_u32_e32 v14, v14, v11
	v_mov_b32_e32 v15, v10
	v_addc_co_u32_e64 v8, s[0:1], v16, v8, s[0:1]
	v_lshlrev_b64 v[15:16], 2, v[14:15]
	v_cndmask_b32_e32 v8, v8, v12, vcc
	global_load_dword v7, v[7:8], off
	v_mov_b32_e32 v8, s7
	v_add_co_u32_e32 v12, vcc, s5, v15
	v_addc_co_u32_e32 v8, vcc, v8, v16, vcc
	v_subrev_co_u32_e32 v14, vcc, s23, v14
	v_mov_b32_e32 v15, v10
	v_lshlrev_b64 v[14:15], 2, v[14:15]
	v_mov_b32_e32 v10, s8
	v_add_co_u32_e64 v14, s[0:1], s4, v14
	v_addc_co_u32_e64 v10, s[0:1], v10, v15, s[0:1]
	v_cndmask_b32_e32 v15, v10, v8, vcc
	v_cndmask_b32_e32 v14, v14, v12, vcc
	global_load_dword v8, v[14:15], off
	s_add_i32 s21, s33, s23
	s_cbranch_execz .LBB3_4
	s_branch .LBB3_21
.LBB3_3:
                                        ; implicit-def: $vgpr1_vgpr2_vgpr3_vgpr4_vgpr5_vgpr6_vgpr7_vgpr8
                                        ; implicit-def: $sgpr21
.LBB3_4:
	s_add_i32 s21, s33, s23
	s_waitcnt vmcnt(7)
	v_mov_b32_e32 v1, 0
	v_cmp_gt_u32_e32 vcc, s21, v0
	s_waitcnt vmcnt(6)
	v_mov_b32_e32 v2, v1
	s_waitcnt vmcnt(5)
	v_mov_b32_e32 v3, v1
	;; [unrolled: 2-line block ×7, first 2 shown]
	s_and_saveexec_b64 s[0:1], vcc
	s_cbranch_execz .LBB3_6
; %bb.5:
	v_mov_b32_e32 v2, s7
	v_add_co_u32_e32 v4, vcc, s5, v13
	v_subrev_u32_e32 v3, s23, v0
	v_addc_co_u32_e32 v2, vcc, 0, v2, vcc
	v_lshlrev_b32_e32 v3, 2, v3
	v_mov_b32_e32 v5, s8
	v_add_co_u32_e32 v6, vcc, s4, v3
	v_addc_co_u32_e32 v3, vcc, 0, v5, vcc
	v_cmp_gt_u32_e32 vcc, s23, v0
	v_cndmask_b32_e32 v3, v3, v2, vcc
	v_cndmask_b32_e32 v2, v6, v4, vcc
	global_load_dword v14, v[2:3], off
	v_mov_b32_e32 v15, v1
	v_mov_b32_e32 v16, v1
	v_mov_b32_e32 v17, v1
	v_mov_b32_e32 v18, v1
	v_mov_b32_e32 v19, v1
	v_mov_b32_e32 v20, v1
	v_mov_b32_e32 v21, v1
	s_waitcnt vmcnt(0)
	v_mov_b32_e32 v1, v14
	v_mov_b32_e32 v2, v15
	;; [unrolled: 1-line block ×8, first 2 shown]
.LBB3_6:
	s_or_b64 exec, exec, s[0:1]
	v_cmp_gt_u32_e32 vcc, s21, v9
	s_and_saveexec_b64 s[2:3], vcc
	s_cbranch_execz .LBB3_8
; %bb.7:
	v_mov_b32_e32 v10, 0
	v_lshlrev_b64 v[14:15], 2, v[9:10]
	v_mov_b32_e32 v2, s7
	v_add_co_u32_e32 v12, vcc, s5, v14
	v_addc_co_u32_e32 v2, vcc, v2, v15, vcc
	v_subrev_co_u32_e32 v14, vcc, s23, v9
	v_mov_b32_e32 v15, v10
	v_lshlrev_b64 v[14:15], 2, v[14:15]
	v_mov_b32_e32 v10, s8
	v_add_co_u32_e64 v14, s[0:1], s4, v14
	v_addc_co_u32_e64 v10, s[0:1], v10, v15, s[0:1]
	v_cndmask_b32_e32 v15, v10, v2, vcc
	v_cndmask_b32_e32 v14, v14, v12, vcc
	global_load_dword v2, v[14:15], off
.LBB3_8:
	s_or_b64 exec, exec, s[2:3]
	v_add_u32_e32 v9, v9, v11
	v_cmp_gt_u32_e32 vcc, s21, v9
	s_and_saveexec_b64 s[2:3], vcc
	s_cbranch_execz .LBB3_10
; %bb.9:
	v_mov_b32_e32 v10, 0
	v_lshlrev_b64 v[14:15], 2, v[9:10]
	v_mov_b32_e32 v3, s7
	v_add_co_u32_e32 v12, vcc, s5, v14
	v_addc_co_u32_e32 v3, vcc, v3, v15, vcc
	v_subrev_co_u32_e32 v14, vcc, s23, v9
	v_mov_b32_e32 v15, v10
	v_lshlrev_b64 v[14:15], 2, v[14:15]
	v_mov_b32_e32 v10, s8
	v_add_co_u32_e64 v14, s[0:1], s4, v14
	v_addc_co_u32_e64 v10, s[0:1], v10, v15, s[0:1]
	v_cndmask_b32_e32 v15, v10, v3, vcc
	v_cndmask_b32_e32 v14, v14, v12, vcc
	global_load_dword v3, v[14:15], off
.LBB3_10:
	s_or_b64 exec, exec, s[2:3]
	v_add_u32_e32 v9, v9, v11
	;; [unrolled: 21-line block ×6, first 2 shown]
	v_cmp_gt_u32_e32 vcc, s21, v9
	s_and_saveexec_b64 s[2:3], vcc
	s_cbranch_execz .LBB3_20
; %bb.19:
	v_mov_b32_e32 v10, 0
	v_lshlrev_b64 v[11:12], 2, v[9:10]
	v_mov_b32_e32 v8, s7
	v_add_co_u32_e32 v11, vcc, s5, v11
	v_addc_co_u32_e32 v12, vcc, v8, v12, vcc
	v_subrev_co_u32_e32 v9, vcc, s23, v9
	v_lshlrev_b64 v[8:9], 2, v[9:10]
	v_mov_b32_e32 v10, s8
	v_add_co_u32_e64 v8, s[0:1], s4, v8
	v_addc_co_u32_e64 v9, s[0:1], v10, v9, s[0:1]
	v_cndmask_b32_e32 v9, v9, v12, vcc
	v_cndmask_b32_e32 v8, v8, v11, vcc
	global_load_dword v8, v[8:9], off
.LBB3_20:
	s_or_b64 exec, exec, s[2:3]
.LBB3_21:
	v_lshlrev_b32_e32 v14, 3, v0
	v_min_u32_e32 v10, s21, v14
	v_sub_u32_e64 v9, v10, s33 clamp
	v_min_u32_e32 v11, s23, v10
	v_cmp_lt_u32_e32 vcc, v9, v11
	s_waitcnt vmcnt(0)
	ds_write2st64_b32 v13, v1, v2 offset1:2
	ds_write2st64_b32 v13, v3, v4 offset0:4 offset1:6
	ds_write2st64_b32 v13, v5, v6 offset0:8 offset1:10
	;; [unrolled: 1-line block ×3, first 2 shown]
	s_waitcnt lgkmcnt(0)
	s_barrier
	s_and_saveexec_b64 s[0:1], vcc
	s_cbranch_execz .LBB3_25
; %bb.22:
	v_lshlrev_b32_e32 v12, 2, v10
	v_lshl_add_u32 v12, s23, 2, v12
	s_mov_b64 s[2:3], 0
.LBB3_23:                               ; =>This Inner Loop Header: Depth=1
	v_add_u32_e32 v15, v11, v9
	v_lshrrev_b32_e32 v15, 1, v15
	v_not_b32_e32 v16, v15
	v_lshlrev_b32_e32 v17, 2, v15
	v_lshl_add_u32 v16, v16, 2, v12
	ds_read_b32 v17, v17
	ds_read_b32 v16, v16
	v_add_u32_e32 v18, 1, v15
	s_waitcnt lgkmcnt(0)
	v_cmp_gt_i32_e32 vcc, v16, v17
	v_cndmask_b32_e32 v11, v11, v15, vcc
	v_cndmask_b32_e32 v9, v18, v9, vcc
	v_cmp_ge_u32_e32 vcc, v9, v11
	s_or_b64 s[2:3], vcc, s[2:3]
	s_andn2_b64 exec, exec, s[2:3]
	s_cbranch_execnz .LBB3_23
; %bb.24:
	s_or_b64 exec, exec, s[2:3]
.LBB3_25:
	s_or_b64 exec, exec, s[0:1]
	v_sub_u32_e32 v10, v10, v9
	v_add_u32_e32 v10, s23, v10
	v_cmp_ge_u32_e32 vcc, s23, v9
	v_cmp_ge_u32_e64 s[0:1], s21, v10
	s_or_b64 s[0:1], vcc, s[0:1]
	v_mov_b32_e32 v15, 0
	v_mov_b32_e32 v16, 0
	;; [unrolled: 1-line block ×8, first 2 shown]
	s_and_saveexec_b64 s[36:37], s[0:1]
	s_cbranch_execz .LBB3_31
; %bb.26:
	v_cmp_gt_u32_e32 vcc, s23, v9
                                        ; implicit-def: $vgpr1
	s_and_saveexec_b64 s[0:1], vcc
; %bb.27:
	v_lshlrev_b32_e32 v1, 2, v9
	ds_read_b32 v1, v1
; %bb.28:
	s_or_b64 exec, exec, s[0:1]
	v_cmp_le_u32_e64 s[0:1], s21, v10
	v_cmp_gt_u32_e64 s[2:3], s21, v10
                                        ; implicit-def: $vgpr2
	s_and_saveexec_b64 s[4:5], s[2:3]
; %bb.29:
	v_lshlrev_b32_e32 v2, 2, v10
	ds_read_b32 v2, v2
; %bb.30:
	s_or_b64 exec, exec, s[4:5]
	s_waitcnt lgkmcnt(0)
	v_cmp_le_i32_e64 s[2:3], v2, v1
	s_and_b64 s[2:3], vcc, s[2:3]
	s_or_b64 vcc, s[0:1], s[2:3]
	v_mov_b32_e32 v4, s21
	v_mov_b32_e32 v5, s23
	v_cndmask_b32_e32 v22, v10, v9, vcc
	v_cndmask_b32_e32 v3, v4, v5, vcc
	v_add_u32_e32 v6, 1, v22
	v_add_u32_e32 v3, -1, v3
	v_min_u32_e32 v3, v6, v3
	v_lshlrev_b32_e32 v3, 2, v3
	ds_read_b32 v3, v3
	v_cndmask_b32_e32 v8, v6, v10, vcc
	v_cndmask_b32_e32 v6, v9, v6, vcc
	v_cmp_gt_u32_e64 s[2:3], s23, v6
	v_cmp_le_u32_e64 s[0:1], s21, v8
	s_waitcnt lgkmcnt(0)
	v_cndmask_b32_e32 v7, v3, v2, vcc
	v_cndmask_b32_e32 v3, v1, v3, vcc
	v_cmp_le_i32_e64 s[4:5], v7, v3
	s_and_b64 s[2:3], s[2:3], s[4:5]
	s_or_b64 s[0:1], s[0:1], s[2:3]
	v_cndmask_b32_e64 v21, v8, v6, s[0:1]
	v_cndmask_b32_e64 v9, v4, v5, s[0:1]
	v_add_u32_e32 v10, 1, v21
	v_add_u32_e32 v9, -1, v9
	v_min_u32_e32 v9, v10, v9
	v_lshlrev_b32_e32 v9, 2, v9
	ds_read_b32 v9, v9
	v_cndmask_b32_e64 v6, v6, v10, s[0:1]
	v_cndmask_b32_e64 v8, v10, v8, s[0:1]
	v_cmp_gt_u32_e64 s[4:5], s23, v6
	v_cmp_le_u32_e64 s[2:3], s21, v8
	s_waitcnt lgkmcnt(0)
	v_cndmask_b32_e64 v11, v9, v7, s[0:1]
	v_cndmask_b32_e64 v9, v3, v9, s[0:1]
	v_cmp_le_i32_e64 s[6:7], v11, v9
	s_and_b64 s[4:5], s[4:5], s[6:7]
	s_or_b64 s[2:3], s[2:3], s[4:5]
	v_cndmask_b32_e64 v20, v8, v6, s[2:3]
	v_cndmask_b32_e64 v10, v4, v5, s[2:3]
	v_add_u32_e32 v12, 1, v20
	v_add_u32_e32 v10, -1, v10
	v_min_u32_e32 v10, v12, v10
	v_lshlrev_b32_e32 v10, 2, v10
	ds_read_b32 v10, v10
	v_cndmask_b32_e64 v6, v6, v12, s[2:3]
	v_cndmask_b32_e64 v8, v12, v8, s[2:3]
	v_cmp_gt_u32_e64 s[6:7], s23, v6
	v_cmp_le_u32_e64 s[4:5], s21, v8
	s_waitcnt lgkmcnt(0)
	v_cndmask_b32_e64 v15, v10, v11, s[2:3]
	v_cndmask_b32_e64 v10, v9, v10, s[2:3]
	;; [unrolled: 17-line block ×4, first 2 shown]
	v_cmp_le_i32_e64 s[12:13], v24, v25
	s_and_b64 s[10:11], s[10:11], s[12:13]
	s_or_b64 s[8:9], s[8:9], s[10:11]
	v_cndmask_b32_e64 v17, v8, v6, s[8:9]
	v_cndmask_b32_e64 v16, v4, v5, s[8:9]
	v_add_u32_e32 v26, 1, v17
	v_add_u32_e32 v16, -1, v16
	v_min_u32_e32 v16, v26, v16
	v_lshlrev_b32_e32 v16, 2, v16
	ds_read_b32 v16, v16
	v_cndmask_b32_e32 v1, v2, v1, vcc
	v_cndmask_b32_e64 v2, v7, v3, s[0:1]
	v_cndmask_b32_e64 v3, v11, v9, s[2:3]
	;; [unrolled: 1-line block ×3, first 2 shown]
	s_waitcnt lgkmcnt(0)
	v_cndmask_b32_e64 v9, v16, v24, s[8:9]
	v_cndmask_b32_e64 v11, v25, v16, s[8:9]
	;; [unrolled: 1-line block ×3, first 2 shown]
	v_cmp_gt_u32_e64 s[0:1], s23, v26
	v_cmp_le_i32_e64 s[2:3], v9, v11
	v_cmp_le_u32_e32 vcc, s21, v8
	s_and_b64 s[0:1], s[0:1], s[2:3]
	s_or_b64 vcc, vcc, s[0:1]
	v_cndmask_b32_e32 v16, v8, v26, vcc
	v_cndmask_b32_e32 v4, v4, v5, vcc
	v_add_u32_e32 v27, 1, v16
	v_add_u32_e32 v4, -1, v4
	v_min_u32_e32 v4, v27, v4
	v_lshlrev_b32_e32 v4, 2, v4
	ds_read_b32 v28, v4
	v_cndmask_b32_e64 v4, v15, v10, s[4:5]
	v_cndmask_b32_e32 v7, v9, v11, vcc
	v_cndmask_b32_e32 v8, v27, v8, vcc
	v_cndmask_b32_e64 v5, v23, v12, s[6:7]
	s_waitcnt lgkmcnt(0)
	v_cndmask_b32_e32 v9, v28, v9, vcc
	v_cndmask_b32_e32 v10, v11, v28, vcc
	;; [unrolled: 1-line block ×3, first 2 shown]
	v_cmp_gt_u32_e64 s[0:1], s23, v11
	v_cmp_le_i32_e64 s[2:3], v9, v10
	v_cmp_le_u32_e32 vcc, s21, v8
	s_and_b64 s[0:1], s[0:1], s[2:3]
	s_or_b64 vcc, vcc, s[0:1]
	v_cndmask_b32_e64 v6, v24, v25, s[8:9]
	v_cndmask_b32_e32 v15, v8, v11, vcc
	v_cndmask_b32_e32 v8, v9, v10, vcc
.LBB3_31:
	s_or_b64 exec, exec, s[36:37]
	s_add_u32 s8, s16, s30
	s_addc_u32 s9, s17, s31
	s_add_u32 s6, s16, s34
	v_cndmask_b32_e64 v9, 0, 1, s[24:25]
	s_addc_u32 s7, s17, s35
	v_cmp_gt_u32_e64 s[4:5], s23, v0
	v_cmp_ne_u32_e64 s[0:1], 1, v9
	s_andn2_b64 vcc, exec, s[24:25]
	v_cmp_le_u32_e64 s[2:3], s23, v0
	s_barrier
	s_cbranch_vccnz .LBB3_33
; %bb.32:
	v_subrev_u32_e32 v9, s23, v0
	v_lshlrev_b32_e32 v9, 2, v9
	v_mov_b32_e32 v10, s7
	v_add_co_u32_e32 v9, vcc, s6, v9
	v_addc_co_u32_e32 v10, vcc, 0, v10, vcc
	v_mov_b32_e32 v11, s9
	v_add_co_u32_e32 v12, vcc, s8, v13
	v_addc_co_u32_e32 v11, vcc, 0, v11, vcc
	v_cndmask_b32_e64 v10, v10, v11, s[4:5]
	v_cndmask_b32_e64 v9, v9, v12, s[4:5]
	global_load_dword v11, v[9:10], off
	v_or_b32_e32 v9, 0x80, v0
	v_subrev_u32_e32 v10, s23, v9
	v_min_u32_e32 v10, v9, v10
	v_cmp_gt_u32_e32 vcc, s23, v9
	v_mov_b32_e32 v25, s6
	v_mov_b32_e32 v26, s8
	;; [unrolled: 1-line block ×4, first 2 shown]
	v_cndmask_b32_e32 v9, v25, v26, vcc
	v_lshlrev_b32_e32 v10, 2, v10
	v_cndmask_b32_e32 v23, v12, v24, vcc
	v_add_co_u32_e32 v9, vcc, v9, v10
	v_addc_co_u32_e32 v10, vcc, 0, v23, vcc
	global_load_dword v23, v[9:10], off
	v_or_b32_e32 v9, 0x100, v0
	v_subrev_u32_e32 v10, s23, v9
	v_min_u32_e32 v10, v9, v10
	v_cmp_gt_u32_e32 vcc, s23, v9
	v_cndmask_b32_e32 v9, v25, v26, vcc
	v_lshlrev_b32_e32 v10, 2, v10
	v_cndmask_b32_e32 v27, v12, v24, vcc
	v_add_co_u32_e32 v9, vcc, v9, v10
	v_addc_co_u32_e32 v10, vcc, 0, v27, vcc
	global_load_dword v27, v[9:10], off
	v_or_b32_e32 v9, 0x180, v0
	v_subrev_u32_e32 v10, s23, v9
	v_min_u32_e32 v10, v9, v10
	v_cmp_gt_u32_e32 vcc, s23, v9
	;; [unrolled: 10-line block ×5, first 2 shown]
	v_cndmask_b32_e32 v9, v25, v26, vcc
	v_lshlrev_b32_e32 v10, 2, v10
	v_cndmask_b32_e32 v31, v12, v24, vcc
	v_add_co_u32_e32 v9, vcc, v9, v10
	v_addc_co_u32_e32 v10, vcc, 0, v31, vcc
	global_load_dword v9, v[9:10], off
	s_mov_b64 s[4:5], -1
	s_waitcnt vmcnt(5)
	ds_write2st64_b32 v13, v11, v23 offset1:2
	s_waitcnt vmcnt(3)
	ds_write2st64_b32 v13, v27, v28 offset0:4 offset1:6
	s_waitcnt vmcnt(1)
	ds_write2st64_b32 v13, v29, v30 offset0:8 offset1:10
	s_waitcnt vmcnt(0)
	ds_write_b32 v13, v9 offset:3072
	v_or_b32_e32 v23, 0x380, v0
	v_subrev_u32_e32 v9, s23, v23
	v_cmp_gt_u32_e32 vcc, s23, v23
	v_min_u32_e32 v11, v23, v9
	v_cndmask_b32_e32 v10, v12, v24, vcc
	v_cndmask_b32_e32 v9, v25, v26, vcc
	s_cbranch_execz .LBB3_34
	s_branch .LBB3_65
.LBB3_33:
	s_mov_b64 s[4:5], 0
                                        ; implicit-def: $vgpr23
                                        ; implicit-def: $vgpr9_vgpr10
                                        ; implicit-def: $vgpr11
.LBB3_34:
	s_mov_b64 s[4:5], 0
                                        ; implicit-def: $vgpr9_vgpr10
	s_and_saveexec_b64 s[10:11], s[2:3]
	s_xor_b64 s[2:3], exec, s[10:11]
	s_cbranch_execnz .LBB3_104
; %bb.35:
	s_andn2_saveexec_b64 s[2:3], s[2:3]
	s_cbranch_execnz .LBB3_107
.LBB3_36:
	s_or_b64 exec, exec, s[2:3]
	s_and_saveexec_b64 s[2:3], s[4:5]
	s_cbranch_execz .LBB3_38
.LBB3_37:
	global_load_dword v9, v[9:10], off
	s_waitcnt vmcnt(0)
	ds_write_b32 v13, v9
.LBB3_38:
	s_or_b64 exec, exec, s[2:3]
	v_or_b32_e32 v11, 0x80, v0
	v_mov_b32_e32 v9, s26
	v_cmp_le_u32_e32 vcc, s23, v11
	s_mov_b64 s[2:3], -1
	v_mov_b32_e32 v10, s27
	s_and_saveexec_b64 s[4:5], vcc
; %bb.39:
	v_subrev_u32_e32 v11, s23, v11
	v_cmp_gt_u32_e32 vcc, s33, v11
	v_mov_b32_e32 v9, s28
	v_mov_b32_e32 v10, s29
	s_orn2_b64 s[2:3], vcc, exec
; %bb.40:
	s_or_b64 exec, exec, s[4:5]
	s_and_saveexec_b64 s[4:5], s[2:3]
	s_cbranch_execz .LBB3_42
; %bb.41:
	v_lshlrev_b64 v[9:10], 2, v[9:10]
	v_mov_b32_e32 v12, s17
	v_add_co_u32_e32 v9, vcc, s16, v9
	v_addc_co_u32_e32 v10, vcc, v12, v10, vcc
	v_lshlrev_b32_e32 v11, 2, v11
	v_add_co_u32_e32 v9, vcc, v9, v11
	v_addc_co_u32_e32 v10, vcc, 0, v10, vcc
	global_load_dword v9, v[9:10], off
	s_waitcnt vmcnt(0)
	ds_write_b32 v13, v9 offset:512
.LBB3_42:
	s_or_b64 exec, exec, s[4:5]
	v_or_b32_e32 v11, 0x100, v0
	v_mov_b32_e32 v9, s26
	v_cmp_le_u32_e32 vcc, s23, v11
	s_mov_b64 s[2:3], -1
	v_mov_b32_e32 v10, s27
	s_and_saveexec_b64 s[4:5], vcc
; %bb.43:
	v_subrev_u32_e32 v11, s23, v11
	v_cmp_gt_u32_e32 vcc, s33, v11
	v_mov_b32_e32 v9, s28
	v_mov_b32_e32 v10, s29
	s_orn2_b64 s[2:3], vcc, exec
; %bb.44:
	s_or_b64 exec, exec, s[4:5]
	s_and_saveexec_b64 s[4:5], s[2:3]
	s_cbranch_execz .LBB3_46
; %bb.45:
	v_lshlrev_b64 v[9:10], 2, v[9:10]
	v_mov_b32_e32 v12, s17
	v_add_co_u32_e32 v9, vcc, s16, v9
	v_addc_co_u32_e32 v10, vcc, v12, v10, vcc
	v_lshlrev_b32_e32 v11, 2, v11
	v_add_co_u32_e32 v9, vcc, v9, v11
	v_addc_co_u32_e32 v10, vcc, 0, v10, vcc
	global_load_dword v9, v[9:10], off
	s_waitcnt vmcnt(0)
	ds_write_b32 v13, v9 offset:1024
.LBB3_46:
	;; [unrolled: 29-line block ×6, first 2 shown]
	s_or_b64 exec, exec, s[4:5]
	v_or_b32_e32 v23, 0x380, v0
	v_mov_b32_e32 v10, s9
	v_cmp_le_u32_e32 vcc, s23, v23
	s_mov_b64 s[4:5], -1
	v_mov_b32_e32 v9, s8
	v_mov_b32_e32 v11, v23
	s_and_saveexec_b64 s[2:3], vcc
; %bb.63:
	v_subrev_u32_e32 v11, s23, v23
	v_cmp_gt_u32_e32 vcc, s33, v11
	v_mov_b32_e32 v10, s7
	v_mov_b32_e32 v9, s6
	s_orn2_b64 s[4:5], vcc, exec
; %bb.64:
	s_or_b64 exec, exec, s[2:3]
.LBB3_65:
	s_and_saveexec_b64 s[2:3], s[4:5]
	s_cbranch_execz .LBB3_67
; %bb.66:
	v_mov_b32_e32 v12, 0
	v_lshlrev_b64 v[11:12], 2, v[11:12]
	v_add_co_u32_e32 v9, vcc, v9, v11
	v_addc_co_u32_e32 v10, vcc, v10, v12, vcc
	global_load_dword v9, v[9:10], off
	v_lshlrev_b32_e32 v10, 2, v23
	s_waitcnt vmcnt(0)
	ds_write_b32 v10, v9
.LBB3_67:
	s_or_b64 exec, exec, s[2:3]
	s_and_b64 vcc, exec, s[0:1]
	v_add_u32_e32 v9, s22, v14
	s_waitcnt lgkmcnt(0)
	s_barrier
	s_cbranch_vccnz .LBB3_69
; %bb.68:
	v_lshlrev_b32_e32 v23, 2, v22
	v_lshlrev_b32_e32 v24, 2, v21
	;; [unrolled: 1-line block ×7, first 2 shown]
	v_mov_b32_e32 v10, 0
	ds_read_b32 v23, v23
	ds_read_b32 v24, v24
	ds_read_b32 v25, v25
	ds_read_b32 v26, v26
	ds_read_b32 v27, v27
	ds_read_b32 v28, v28
	ds_read_b32 v29, v29
	v_lshlrev_b64 v[11:12], 2, v[9:10]
	v_mov_b32_e32 v30, s19
	v_add_co_u32_e32 v11, vcc, s18, v11
	v_addc_co_u32_e32 v12, vcc, v30, v12, vcc
	s_mov_b64 s[0:1], -1
	s_waitcnt lgkmcnt(3)
	global_store_dwordx4 v[11:12], v[23:26], off
	s_waitcnt lgkmcnt(0)
	global_store_dwordx3 v[11:12], v[27:29], off offset:16
	s_cbranch_execz .LBB3_70
	s_branch .LBB3_87
.LBB3_69:
	s_mov_b64 s[0:1], 0
.LBB3_70:
	v_cmp_gt_u32_e32 vcc, s21, v14
	s_and_saveexec_b64 s[2:3], vcc
	s_cbranch_execz .LBB3_72
; %bb.71:
	v_lshlrev_b32_e32 v12, 2, v22
	v_mov_b32_e32 v10, 0
	ds_read_b32 v12, v12
	v_lshlrev_b64 v[10:11], 2, v[9:10]
	v_mov_b32_e32 v22, s19
	v_add_co_u32_e32 v10, vcc, s18, v10
	v_addc_co_u32_e32 v11, vcc, v22, v11, vcc
	s_waitcnt lgkmcnt(0)
	global_store_dword v[10:11], v12, off
.LBB3_72:
	s_or_b64 exec, exec, s[2:3]
	v_or_b32_e32 v10, 1, v14
	v_cmp_gt_u32_e32 vcc, s21, v10
	s_and_saveexec_b64 s[2:3], vcc
	s_cbranch_execz .LBB3_74
; %bb.73:
	v_lshlrev_b32_e32 v12, 2, v21
	v_mov_b32_e32 v10, 0
	ds_read_b32 v12, v12
	v_lshlrev_b64 v[10:11], 2, v[9:10]
	v_mov_b32_e32 v21, s19
	v_add_co_u32_e32 v10, vcc, s18, v10
	v_addc_co_u32_e32 v11, vcc, v21, v11, vcc
	s_waitcnt lgkmcnt(0)
	global_store_dword v[10:11], v12, off offset:4
.LBB3_74:
	s_or_b64 exec, exec, s[2:3]
	v_or_b32_e32 v10, 2, v14
	v_cmp_gt_u32_e32 vcc, s21, v10
	s_and_saveexec_b64 s[2:3], vcc
	s_cbranch_execz .LBB3_76
; %bb.75:
	v_lshlrev_b32_e32 v12, 2, v20
	v_mov_b32_e32 v10, 0
	ds_read_b32 v12, v12
	v_lshlrev_b64 v[10:11], 2, v[9:10]
	v_mov_b32_e32 v20, s19
	v_add_co_u32_e32 v10, vcc, s18, v10
	v_addc_co_u32_e32 v11, vcc, v20, v11, vcc
	s_waitcnt lgkmcnt(0)
	global_store_dword v[10:11], v12, off offset:8
.LBB3_76:
	s_or_b64 exec, exec, s[2:3]
	v_or_b32_e32 v10, 3, v14
	v_cmp_gt_u32_e32 vcc, s21, v10
	s_and_saveexec_b64 s[2:3], vcc
	s_cbranch_execz .LBB3_78
; %bb.77:
	v_lshlrev_b32_e32 v12, 2, v19
	v_mov_b32_e32 v10, 0
	ds_read_b32 v12, v12
	v_lshlrev_b64 v[10:11], 2, v[9:10]
	v_mov_b32_e32 v19, s19
	v_add_co_u32_e32 v10, vcc, s18, v10
	v_addc_co_u32_e32 v11, vcc, v19, v11, vcc
	s_waitcnt lgkmcnt(0)
	global_store_dword v[10:11], v12, off offset:12
.LBB3_78:
	s_or_b64 exec, exec, s[2:3]
	v_or_b32_e32 v10, 4, v14
	v_cmp_gt_u32_e32 vcc, s21, v10
	s_and_saveexec_b64 s[2:3], vcc
	s_cbranch_execz .LBB3_80
; %bb.79:
	v_lshlrev_b32_e32 v12, 2, v18
	v_mov_b32_e32 v10, 0
	ds_read_b32 v12, v12
	v_lshlrev_b64 v[10:11], 2, v[9:10]
	v_mov_b32_e32 v18, s19
	v_add_co_u32_e32 v10, vcc, s18, v10
	v_addc_co_u32_e32 v11, vcc, v18, v11, vcc
	s_waitcnt lgkmcnt(0)
	global_store_dword v[10:11], v12, off offset:16
.LBB3_80:
	s_or_b64 exec, exec, s[2:3]
	v_or_b32_e32 v10, 5, v14
	v_cmp_gt_u32_e32 vcc, s21, v10
	s_and_saveexec_b64 s[2:3], vcc
	s_cbranch_execz .LBB3_82
; %bb.81:
	v_lshlrev_b32_e32 v12, 2, v17
	v_mov_b32_e32 v10, 0
	ds_read_b32 v12, v12
	v_lshlrev_b64 v[10:11], 2, v[9:10]
	v_mov_b32_e32 v17, s19
	v_add_co_u32_e32 v10, vcc, s18, v10
	v_addc_co_u32_e32 v11, vcc, v17, v11, vcc
	s_waitcnt lgkmcnt(0)
	global_store_dword v[10:11], v12, off offset:20
.LBB3_82:
	s_or_b64 exec, exec, s[2:3]
	v_or_b32_e32 v10, 6, v14
	v_cmp_gt_u32_e32 vcc, s21, v10
	s_and_saveexec_b64 s[2:3], vcc
	s_cbranch_execz .LBB3_84
; %bb.83:
	v_lshlrev_b32_e32 v12, 2, v16
	v_mov_b32_e32 v10, 0
	ds_read_b32 v12, v12
	v_lshlrev_b64 v[10:11], 2, v[9:10]
	v_mov_b32_e32 v16, s19
	v_add_co_u32_e32 v10, vcc, s18, v10
	v_addc_co_u32_e32 v11, vcc, v16, v11, vcc
	s_waitcnt lgkmcnt(0)
	global_store_dword v[10:11], v12, off offset:24
.LBB3_84:
	s_or_b64 exec, exec, s[2:3]
	v_or_b32_e32 v10, 7, v14
	v_cmp_gt_u32_e32 vcc, s21, v10
	s_and_saveexec_b64 s[2:3], vcc
; %bb.85:
	v_mov_b32_e32 v10, 0
	s_or_b64 s[0:1], s[0:1], exec
; %bb.86:
	s_or_b64 exec, exec, s[2:3]
.LBB3_87:
	s_and_saveexec_b64 s[2:3], s[0:1]
	s_cbranch_execz .LBB3_89
; %bb.88:
	v_lshlrev_b32_e32 v11, 2, v15
	ds_read_b32 v11, v11
	v_lshlrev_b64 v[9:10], 2, v[9:10]
	v_mov_b32_e32 v12, s19
	v_add_co_u32_e32 v9, vcc, s18, v9
	v_addc_co_u32_e32 v10, vcc, v12, v10, vcc
	s_waitcnt lgkmcnt(0)
	global_store_dword v[9:10], v11, off offset:28
.LBB3_89:
	s_or_b64 exec, exec, s[2:3]
	v_and_b32_e32 v9, 0x7c, v0
	v_lshl_add_u32 v9, v14, 2, v9
	s_waitcnt vmcnt(0)
	s_barrier
	s_barrier
	ds_write2_b32 v9, v1, v2 offset1:1
	ds_write2_b32 v9, v3, v4 offset0:2 offset1:3
	ds_write2_b32 v9, v5, v6 offset0:4 offset1:5
	;; [unrolled: 1-line block ×3, first 2 shown]
	v_lshrrev_b32_e32 v1, 3, v0
	v_and_b32_e32 v1, 12, v1
	v_or_b32_e32 v10, 0x80, v0
	v_add_u32_e32 v11, v1, v13
	v_lshrrev_b32_e32 v1, 3, v10
	v_and_b32_e32 v1, 28, v1
	v_or_b32_e32 v9, 0x100, v0
	v_add_u32_e32 v12, v1, v13
	;; [unrolled: 4-line block ×5, first 2 shown]
	v_lshrrev_b32_e32 v1, 3, v5
	v_and_b32_e32 v1, 0x5c, v1
	v_or_b32_e32 v4, 0x300, v0
	s_mov_b32 s23, 0
	v_add_u32_e32 v17, v1, v13
	v_lshrrev_b32_e32 v1, 3, v4
	s_lshl_b64 s[0:1], s[22:23], 2
	v_and_b32_e32 v1, 0x6c, v1
	v_or_b32_e32 v3, 0x380, v0
	s_add_u32 s0, s14, s0
	v_add_u32_e32 v18, v1, v13
	v_lshrrev_b32_e32 v1, 3, v3
	s_addc_u32 s1, s15, s1
	v_and_b32_e32 v1, 0x7c, v1
	v_add_u32_e32 v19, v1, v13
	v_mov_b32_e32 v2, s1
	v_add_co_u32_e32 v1, vcc, s0, v13
	v_addc_co_u32_e32 v2, vcc, 0, v2, vcc
	s_and_b64 vcc, exec, s[24:25]
	s_waitcnt lgkmcnt(0)
	s_cbranch_vccz .LBB3_91
; %bb.90:
	s_barrier
	ds_read_b32 v13, v11
	ds_read_b32 v20, v12 offset:512
	ds_read_b32 v21, v14 offset:1024
	;; [unrolled: 1-line block ×7, first 2 shown]
	s_waitcnt lgkmcnt(7)
	global_store_dword v[1:2], v13, off
	s_waitcnt lgkmcnt(6)
	global_store_dword v[1:2], v20, off offset:512
	s_waitcnt lgkmcnt(5)
	global_store_dword v[1:2], v21, off offset:1024
	;; [unrolled: 2-line block ×6, first 2 shown]
	s_mov_b64 s[0:1], -1
	s_cbranch_execz .LBB3_92
	s_branch .LBB3_101
.LBB3_91:
	s_mov_b64 s[0:1], 0
                                        ; implicit-def: $vgpr7
.LBB3_92:
	s_waitcnt vmcnt(0) lgkmcnt(0)
	s_barrier
	ds_read_b32 v21, v12 offset:512
	ds_read_b32 v20, v14 offset:1024
	;; [unrolled: 1-line block ×7, first 2 shown]
	s_sub_i32 s2, s20, s22
	v_cmp_gt_u32_e32 vcc, s2, v0
	s_and_saveexec_b64 s[0:1], vcc
	s_cbranch_execnz .LBB3_108
; %bb.93:
	s_or_b64 exec, exec, s[0:1]
	v_cmp_gt_u32_e32 vcc, s2, v10
	s_and_saveexec_b64 s[0:1], vcc
	s_cbranch_execnz .LBB3_109
.LBB3_94:
	s_or_b64 exec, exec, s[0:1]
	v_cmp_gt_u32_e32 vcc, s2, v9
	s_and_saveexec_b64 s[0:1], vcc
	s_cbranch_execnz .LBB3_110
.LBB3_95:
	s_or_b64 exec, exec, s[0:1]
	v_cmp_gt_u32_e32 vcc, s2, v8
	s_and_saveexec_b64 s[0:1], vcc
	s_cbranch_execnz .LBB3_111
.LBB3_96:
	s_or_b64 exec, exec, s[0:1]
	v_cmp_gt_u32_e32 vcc, s2, v6
	s_and_saveexec_b64 s[0:1], vcc
	s_cbranch_execnz .LBB3_112
.LBB3_97:
	s_or_b64 exec, exec, s[0:1]
	v_cmp_gt_u32_e32 vcc, s2, v5
	s_and_saveexec_b64 s[0:1], vcc
	s_cbranch_execnz .LBB3_113
.LBB3_98:
	s_or_b64 exec, exec, s[0:1]
	v_cmp_gt_u32_e32 vcc, s2, v4
	s_and_saveexec_b64 s[0:1], vcc
	s_cbranch_execz .LBB3_100
.LBB3_99:
	s_waitcnt lgkmcnt(1)
	global_store_dword v[1:2], v12, off offset:3072
.LBB3_100:
	s_or_b64 exec, exec, s[0:1]
	v_cmp_gt_u32_e64 s[0:1], s2, v3
.LBB3_101:
	s_and_saveexec_b64 s[2:3], s[0:1]
	s_cbranch_execz .LBB3_103
; %bb.102:
	s_waitcnt lgkmcnt(0)
	global_store_dword v[1:2], v7, off offset:3584
.LBB3_103:
	s_endpgm
.LBB3_104:
	v_subrev_u32_e32 v11, s23, v0
	v_cmp_gt_u32_e32 vcc, s33, v11
                                        ; implicit-def: $vgpr9_vgpr10
	s_and_saveexec_b64 s[10:11], vcc
	s_xor_b64 s[10:11], exec, s[10:11]
; %bb.105:
	v_lshlrev_b32_e32 v9, 2, v11
	v_mov_b32_e32 v10, s7
	v_add_co_u32_e32 v9, vcc, s6, v9
	s_mov_b64 s[4:5], exec
	v_addc_co_u32_e32 v10, vcc, 0, v10, vcc
; %bb.106:
	s_or_b64 exec, exec, s[10:11]
	s_and_b64 s[4:5], s[4:5], exec
	s_andn2_saveexec_b64 s[2:3], s[2:3]
	s_cbranch_execz .LBB3_36
.LBB3_107:
	v_mov_b32_e32 v10, s9
	v_add_co_u32_e32 v9, vcc, s8, v13
	v_addc_co_u32_e32 v10, vcc, 0, v10, vcc
	s_or_b64 s[4:5], s[4:5], exec
	s_or_b64 exec, exec, s[2:3]
	s_and_saveexec_b64 s[2:3], s[4:5]
	s_cbranch_execnz .LBB3_37
	s_branch .LBB3_38
.LBB3_108:
	ds_read_b32 v0, v11
	s_waitcnt lgkmcnt(0)
	global_store_dword v[1:2], v0, off
	s_or_b64 exec, exec, s[0:1]
	v_cmp_gt_u32_e32 vcc, s2, v10
	s_and_saveexec_b64 s[0:1], vcc
	s_cbranch_execz .LBB3_94
.LBB3_109:
	s_waitcnt lgkmcnt(6)
	global_store_dword v[1:2], v21, off offset:512
	s_or_b64 exec, exec, s[0:1]
	v_cmp_gt_u32_e32 vcc, s2, v9
	s_and_saveexec_b64 s[0:1], vcc
	s_cbranch_execz .LBB3_95
.LBB3_110:
	s_waitcnt lgkmcnt(5)
	global_store_dword v[1:2], v20, off offset:1024
	s_or_b64 exec, exec, s[0:1]
	v_cmp_gt_u32_e32 vcc, s2, v8
	s_and_saveexec_b64 s[0:1], vcc
	s_cbranch_execz .LBB3_96
.LBB3_111:
	s_waitcnt lgkmcnt(4)
	global_store_dword v[1:2], v15, off offset:1536
	s_or_b64 exec, exec, s[0:1]
	v_cmp_gt_u32_e32 vcc, s2, v6
	s_and_saveexec_b64 s[0:1], vcc
	s_cbranch_execz .LBB3_97
.LBB3_112:
	s_waitcnt lgkmcnt(3)
	global_store_dword v[1:2], v14, off offset:2048
	s_or_b64 exec, exec, s[0:1]
	v_cmp_gt_u32_e32 vcc, s2, v5
	s_and_saveexec_b64 s[0:1], vcc
	s_cbranch_execz .LBB3_98
.LBB3_113:
	s_waitcnt lgkmcnt(2)
	global_store_dword v[1:2], v13, off offset:2560
	s_or_b64 exec, exec, s[0:1]
	v_cmp_gt_u32_e32 vcc, s2, v4
	s_and_saveexec_b64 s[0:1], vcc
	s_cbranch_execnz .LBB3_99
	s_branch .LBB3_100
	.section	.rodata,"a",@progbits
	.p2align	6, 0x0
	.amdhsa_kernel _ZN7rocprim17ROCPRIM_304000_NS6detail35device_block_merge_mergepath_kernelINS1_37wrapped_merge_sort_block_merge_configINS0_14default_configEiN2at4cuda3cub6detail10OpaqueTypeILi4EEEEEPiSC_PSA_SD_jNS1_19radix_merge_compareILb1ELb0EiNS0_19identity_decomposerEEEEEvT0_T1_T2_T3_T4_SL_jT5_PKSL_NS1_7vsmem_tE
		.amdhsa_group_segment_fixed_size 4224
		.amdhsa_private_segment_fixed_size 0
		.amdhsa_kernarg_size 320
		.amdhsa_user_sgpr_count 6
		.amdhsa_user_sgpr_private_segment_buffer 1
		.amdhsa_user_sgpr_dispatch_ptr 0
		.amdhsa_user_sgpr_queue_ptr 0
		.amdhsa_user_sgpr_kernarg_segment_ptr 1
		.amdhsa_user_sgpr_dispatch_id 0
		.amdhsa_user_sgpr_flat_scratch_init 0
		.amdhsa_user_sgpr_private_segment_size 0
		.amdhsa_uses_dynamic_stack 0
		.amdhsa_system_sgpr_private_segment_wavefront_offset 0
		.amdhsa_system_sgpr_workgroup_id_x 1
		.amdhsa_system_sgpr_workgroup_id_y 1
		.amdhsa_system_sgpr_workgroup_id_z 1
		.amdhsa_system_sgpr_workgroup_info 0
		.amdhsa_system_vgpr_workitem_id 0
		.amdhsa_next_free_vgpr 32
		.amdhsa_next_free_sgpr 61
		.amdhsa_reserve_vcc 1
		.amdhsa_reserve_flat_scratch 0
		.amdhsa_float_round_mode_32 0
		.amdhsa_float_round_mode_16_64 0
		.amdhsa_float_denorm_mode_32 3
		.amdhsa_float_denorm_mode_16_64 3
		.amdhsa_dx10_clamp 1
		.amdhsa_ieee_mode 1
		.amdhsa_fp16_overflow 0
		.amdhsa_exception_fp_ieee_invalid_op 0
		.amdhsa_exception_fp_denorm_src 0
		.amdhsa_exception_fp_ieee_div_zero 0
		.amdhsa_exception_fp_ieee_overflow 0
		.amdhsa_exception_fp_ieee_underflow 0
		.amdhsa_exception_fp_ieee_inexact 0
		.amdhsa_exception_int_div_zero 0
	.end_amdhsa_kernel
	.section	.text._ZN7rocprim17ROCPRIM_304000_NS6detail35device_block_merge_mergepath_kernelINS1_37wrapped_merge_sort_block_merge_configINS0_14default_configEiN2at4cuda3cub6detail10OpaqueTypeILi4EEEEEPiSC_PSA_SD_jNS1_19radix_merge_compareILb1ELb0EiNS0_19identity_decomposerEEEEEvT0_T1_T2_T3_T4_SL_jT5_PKSL_NS1_7vsmem_tE,"axG",@progbits,_ZN7rocprim17ROCPRIM_304000_NS6detail35device_block_merge_mergepath_kernelINS1_37wrapped_merge_sort_block_merge_configINS0_14default_configEiN2at4cuda3cub6detail10OpaqueTypeILi4EEEEEPiSC_PSA_SD_jNS1_19radix_merge_compareILb1ELb0EiNS0_19identity_decomposerEEEEEvT0_T1_T2_T3_T4_SL_jT5_PKSL_NS1_7vsmem_tE,comdat
.Lfunc_end3:
	.size	_ZN7rocprim17ROCPRIM_304000_NS6detail35device_block_merge_mergepath_kernelINS1_37wrapped_merge_sort_block_merge_configINS0_14default_configEiN2at4cuda3cub6detail10OpaqueTypeILi4EEEEEPiSC_PSA_SD_jNS1_19radix_merge_compareILb1ELb0EiNS0_19identity_decomposerEEEEEvT0_T1_T2_T3_T4_SL_jT5_PKSL_NS1_7vsmem_tE, .Lfunc_end3-_ZN7rocprim17ROCPRIM_304000_NS6detail35device_block_merge_mergepath_kernelINS1_37wrapped_merge_sort_block_merge_configINS0_14default_configEiN2at4cuda3cub6detail10OpaqueTypeILi4EEEEEPiSC_PSA_SD_jNS1_19radix_merge_compareILb1ELb0EiNS0_19identity_decomposerEEEEEvT0_T1_T2_T3_T4_SL_jT5_PKSL_NS1_7vsmem_tE
                                        ; -- End function
	.set _ZN7rocprim17ROCPRIM_304000_NS6detail35device_block_merge_mergepath_kernelINS1_37wrapped_merge_sort_block_merge_configINS0_14default_configEiN2at4cuda3cub6detail10OpaqueTypeILi4EEEEEPiSC_PSA_SD_jNS1_19radix_merge_compareILb1ELb0EiNS0_19identity_decomposerEEEEEvT0_T1_T2_T3_T4_SL_jT5_PKSL_NS1_7vsmem_tE.num_vgpr, 32
	.set _ZN7rocprim17ROCPRIM_304000_NS6detail35device_block_merge_mergepath_kernelINS1_37wrapped_merge_sort_block_merge_configINS0_14default_configEiN2at4cuda3cub6detail10OpaqueTypeILi4EEEEEPiSC_PSA_SD_jNS1_19radix_merge_compareILb1ELb0EiNS0_19identity_decomposerEEEEEvT0_T1_T2_T3_T4_SL_jT5_PKSL_NS1_7vsmem_tE.num_agpr, 0
	.set _ZN7rocprim17ROCPRIM_304000_NS6detail35device_block_merge_mergepath_kernelINS1_37wrapped_merge_sort_block_merge_configINS0_14default_configEiN2at4cuda3cub6detail10OpaqueTypeILi4EEEEEPiSC_PSA_SD_jNS1_19radix_merge_compareILb1ELb0EiNS0_19identity_decomposerEEEEEvT0_T1_T2_T3_T4_SL_jT5_PKSL_NS1_7vsmem_tE.numbered_sgpr, 38
	.set _ZN7rocprim17ROCPRIM_304000_NS6detail35device_block_merge_mergepath_kernelINS1_37wrapped_merge_sort_block_merge_configINS0_14default_configEiN2at4cuda3cub6detail10OpaqueTypeILi4EEEEEPiSC_PSA_SD_jNS1_19radix_merge_compareILb1ELb0EiNS0_19identity_decomposerEEEEEvT0_T1_T2_T3_T4_SL_jT5_PKSL_NS1_7vsmem_tE.num_named_barrier, 0
	.set _ZN7rocprim17ROCPRIM_304000_NS6detail35device_block_merge_mergepath_kernelINS1_37wrapped_merge_sort_block_merge_configINS0_14default_configEiN2at4cuda3cub6detail10OpaqueTypeILi4EEEEEPiSC_PSA_SD_jNS1_19radix_merge_compareILb1ELb0EiNS0_19identity_decomposerEEEEEvT0_T1_T2_T3_T4_SL_jT5_PKSL_NS1_7vsmem_tE.private_seg_size, 0
	.set _ZN7rocprim17ROCPRIM_304000_NS6detail35device_block_merge_mergepath_kernelINS1_37wrapped_merge_sort_block_merge_configINS0_14default_configEiN2at4cuda3cub6detail10OpaqueTypeILi4EEEEEPiSC_PSA_SD_jNS1_19radix_merge_compareILb1ELb0EiNS0_19identity_decomposerEEEEEvT0_T1_T2_T3_T4_SL_jT5_PKSL_NS1_7vsmem_tE.uses_vcc, 1
	.set _ZN7rocprim17ROCPRIM_304000_NS6detail35device_block_merge_mergepath_kernelINS1_37wrapped_merge_sort_block_merge_configINS0_14default_configEiN2at4cuda3cub6detail10OpaqueTypeILi4EEEEEPiSC_PSA_SD_jNS1_19radix_merge_compareILb1ELb0EiNS0_19identity_decomposerEEEEEvT0_T1_T2_T3_T4_SL_jT5_PKSL_NS1_7vsmem_tE.uses_flat_scratch, 0
	.set _ZN7rocprim17ROCPRIM_304000_NS6detail35device_block_merge_mergepath_kernelINS1_37wrapped_merge_sort_block_merge_configINS0_14default_configEiN2at4cuda3cub6detail10OpaqueTypeILi4EEEEEPiSC_PSA_SD_jNS1_19radix_merge_compareILb1ELb0EiNS0_19identity_decomposerEEEEEvT0_T1_T2_T3_T4_SL_jT5_PKSL_NS1_7vsmem_tE.has_dyn_sized_stack, 0
	.set _ZN7rocprim17ROCPRIM_304000_NS6detail35device_block_merge_mergepath_kernelINS1_37wrapped_merge_sort_block_merge_configINS0_14default_configEiN2at4cuda3cub6detail10OpaqueTypeILi4EEEEEPiSC_PSA_SD_jNS1_19radix_merge_compareILb1ELb0EiNS0_19identity_decomposerEEEEEvT0_T1_T2_T3_T4_SL_jT5_PKSL_NS1_7vsmem_tE.has_recursion, 0
	.set _ZN7rocprim17ROCPRIM_304000_NS6detail35device_block_merge_mergepath_kernelINS1_37wrapped_merge_sort_block_merge_configINS0_14default_configEiN2at4cuda3cub6detail10OpaqueTypeILi4EEEEEPiSC_PSA_SD_jNS1_19radix_merge_compareILb1ELb0EiNS0_19identity_decomposerEEEEEvT0_T1_T2_T3_T4_SL_jT5_PKSL_NS1_7vsmem_tE.has_indirect_call, 0
	.section	.AMDGPU.csdata,"",@progbits
; Kernel info:
; codeLenInByte = 5940
; TotalNumSgprs: 42
; NumVgprs: 32
; ScratchSize: 0
; MemoryBound: 0
; FloatMode: 240
; IeeeMode: 1
; LDSByteSize: 4224 bytes/workgroup (compile time only)
; SGPRBlocks: 8
; VGPRBlocks: 7
; NumSGPRsForWavesPerEU: 65
; NumVGPRsForWavesPerEU: 32
; Occupancy: 8
; WaveLimiterHint : 1
; COMPUTE_PGM_RSRC2:SCRATCH_EN: 0
; COMPUTE_PGM_RSRC2:USER_SGPR: 6
; COMPUTE_PGM_RSRC2:TRAP_HANDLER: 0
; COMPUTE_PGM_RSRC2:TGID_X_EN: 1
; COMPUTE_PGM_RSRC2:TGID_Y_EN: 1
; COMPUTE_PGM_RSRC2:TGID_Z_EN: 1
; COMPUTE_PGM_RSRC2:TIDIG_COMP_CNT: 0
	.section	.text._ZN7rocprim17ROCPRIM_304000_NS6detail33device_block_merge_oddeven_kernelINS1_37wrapped_merge_sort_block_merge_configINS0_14default_configEiN2at4cuda3cub6detail10OpaqueTypeILi4EEEEEPiSC_PSA_SD_jNS1_19radix_merge_compareILb1ELb0EiNS0_19identity_decomposerEEEEEvT0_T1_T2_T3_T4_SL_T5_,"axG",@progbits,_ZN7rocprim17ROCPRIM_304000_NS6detail33device_block_merge_oddeven_kernelINS1_37wrapped_merge_sort_block_merge_configINS0_14default_configEiN2at4cuda3cub6detail10OpaqueTypeILi4EEEEEPiSC_PSA_SD_jNS1_19radix_merge_compareILb1ELb0EiNS0_19identity_decomposerEEEEEvT0_T1_T2_T3_T4_SL_T5_,comdat
	.protected	_ZN7rocprim17ROCPRIM_304000_NS6detail33device_block_merge_oddeven_kernelINS1_37wrapped_merge_sort_block_merge_configINS0_14default_configEiN2at4cuda3cub6detail10OpaqueTypeILi4EEEEEPiSC_PSA_SD_jNS1_19radix_merge_compareILb1ELb0EiNS0_19identity_decomposerEEEEEvT0_T1_T2_T3_T4_SL_T5_ ; -- Begin function _ZN7rocprim17ROCPRIM_304000_NS6detail33device_block_merge_oddeven_kernelINS1_37wrapped_merge_sort_block_merge_configINS0_14default_configEiN2at4cuda3cub6detail10OpaqueTypeILi4EEEEEPiSC_PSA_SD_jNS1_19radix_merge_compareILb1ELb0EiNS0_19identity_decomposerEEEEEvT0_T1_T2_T3_T4_SL_T5_
	.globl	_ZN7rocprim17ROCPRIM_304000_NS6detail33device_block_merge_oddeven_kernelINS1_37wrapped_merge_sort_block_merge_configINS0_14default_configEiN2at4cuda3cub6detail10OpaqueTypeILi4EEEEEPiSC_PSA_SD_jNS1_19radix_merge_compareILb1ELb0EiNS0_19identity_decomposerEEEEEvT0_T1_T2_T3_T4_SL_T5_
	.p2align	8
	.type	_ZN7rocprim17ROCPRIM_304000_NS6detail33device_block_merge_oddeven_kernelINS1_37wrapped_merge_sort_block_merge_configINS0_14default_configEiN2at4cuda3cub6detail10OpaqueTypeILi4EEEEEPiSC_PSA_SD_jNS1_19radix_merge_compareILb1ELb0EiNS0_19identity_decomposerEEEEEvT0_T1_T2_T3_T4_SL_T5_,@function
_ZN7rocprim17ROCPRIM_304000_NS6detail33device_block_merge_oddeven_kernelINS1_37wrapped_merge_sort_block_merge_configINS0_14default_configEiN2at4cuda3cub6detail10OpaqueTypeILi4EEEEEPiSC_PSA_SD_jNS1_19radix_merge_compareILb1ELb0EiNS0_19identity_decomposerEEEEEvT0_T1_T2_T3_T4_SL_T5_: ; @_ZN7rocprim17ROCPRIM_304000_NS6detail33device_block_merge_oddeven_kernelINS1_37wrapped_merge_sort_block_merge_configINS0_14default_configEiN2at4cuda3cub6detail10OpaqueTypeILi4EEEEEPiSC_PSA_SD_jNS1_19radix_merge_compareILb1ELb0EiNS0_19identity_decomposerEEEEEvT0_T1_T2_T3_T4_SL_T5_
; %bb.0:
	s_load_dwordx2 s[18:19], s[4:5], 0x20
	s_waitcnt lgkmcnt(0)
	s_lshr_b32 s0, s18, 8
	s_cmp_eq_u32 s6, s0
	s_cselect_b64 s[16:17], -1, 0
	s_cmp_lg_u32 s6, s0
	s_cselect_b64 s[0:1], -1, 0
	s_lshl_b32 s20, s6, 8
	s_sub_i32 s2, s18, s20
	v_cmp_gt_u32_e64 s[2:3], s2, v0
	s_or_b64 s[0:1], s[0:1], s[2:3]
	s_and_saveexec_b64 s[8:9], s[0:1]
	s_cbranch_execz .LBB4_24
; %bb.1:
	s_load_dwordx8 s[8:15], s[4:5], 0x0
	s_mov_b32 s21, 0
	s_lshl_b64 s[0:1], s[20:21], 2
	v_lshlrev_b32_e32 v1, 2, v0
	v_add_u32_e32 v0, s20, v0
	s_waitcnt lgkmcnt(0)
	s_add_u32 s4, s8, s0
	s_addc_u32 s5, s9, s1
	s_add_u32 s0, s12, s0
	s_addc_u32 s1, s13, s1
	global_load_dword v2, v1, s[0:1]
	global_load_dword v3, v1, s[4:5]
	s_lshr_b32 s0, s19, 8
	s_sub_i32 s1, 0, s0
	s_and_b32 s1, s6, s1
	s_and_b32 s0, s1, s0
	s_lshl_b32 s13, s1, 8
	s_sub_i32 s6, 0, s19
	s_cmp_eq_u32 s0, 0
	s_cselect_b64 s[0:1], -1, 0
	s_and_b64 s[4:5], s[0:1], exec
	s_cselect_b32 s6, s19, s6
	s_add_i32 s6, s6, s13
	s_mov_b64 s[4:5], -1
	s_cmp_gt_u32 s18, s6
	s_cbranch_scc1 .LBB4_9
; %bb.2:
	s_and_b64 vcc, exec, s[16:17]
	s_cbranch_vccz .LBB4_6
; %bb.3:
	v_cmp_gt_u32_e32 vcc, s18, v0
	s_and_saveexec_b64 s[4:5], vcc
	s_cbranch_execz .LBB4_5
; %bb.4:
	v_mov_b32_e32 v1, 0
	v_lshlrev_b64 v[4:5], 2, v[0:1]
	v_mov_b32_e32 v1, s15
	v_add_co_u32_e32 v6, vcc, s14, v4
	v_addc_co_u32_e32 v7, vcc, v1, v5, vcc
	v_mov_b32_e32 v1, s11
	v_add_co_u32_e32 v4, vcc, s10, v4
	v_addc_co_u32_e32 v5, vcc, v1, v5, vcc
	s_waitcnt vmcnt(0)
	global_store_dword v[4:5], v3, off
	global_store_dword v[6:7], v2, off
.LBB4_5:
	s_or_b64 exec, exec, s[4:5]
	s_mov_b64 s[4:5], 0
.LBB4_6:
	s_andn2_b64 vcc, exec, s[4:5]
	s_cbranch_vccnz .LBB4_8
; %bb.7:
	v_mov_b32_e32 v1, 0
	v_lshlrev_b64 v[4:5], 2, v[0:1]
	v_mov_b32_e32 v1, s11
	v_add_co_u32_e32 v6, vcc, s10, v4
	v_addc_co_u32_e32 v7, vcc, v1, v5, vcc
	v_mov_b32_e32 v1, s15
	v_add_co_u32_e32 v4, vcc, s14, v4
	v_addc_co_u32_e32 v5, vcc, v1, v5, vcc
	s_waitcnt vmcnt(0)
	global_store_dword v[6:7], v3, off
	global_store_dword v[4:5], v2, off
.LBB4_8:
	s_mov_b64 s[4:5], 0
.LBB4_9:
	s_andn2_b64 vcc, exec, s[4:5]
	s_cbranch_vccnz .LBB4_24
; %bb.10:
	s_min_u32 s7, s6, s18
	s_add_i32 s4, s7, s19
	s_min_u32 s12, s4, s18
	s_min_u32 s4, s13, s7
	s_add_i32 s13, s13, s7
	v_subrev_u32_e32 v0, s13, v0
	v_add_u32_e32 v4, s4, v0
	s_andn2_b64 vcc, exec, s[16:17]
	s_mov_b64 s[4:5], -1
	s_cbranch_vccnz .LBB4_18
; %bb.11:
	s_and_saveexec_b64 s[4:5], s[2:3]
	s_cbranch_execz .LBB4_17
; %bb.12:
	s_cmp_ge_u32 s6, s12
	v_mov_b32_e32 v5, s7
	s_cbranch_scc1 .LBB4_16
; %bb.13:
	s_mov_b64 s[2:3], 0
	v_mov_b32_e32 v6, s12
	v_mov_b32_e32 v5, s7
	;; [unrolled: 1-line block ×4, first 2 shown]
.LBB4_14:                               ; =>This Inner Loop Header: Depth=1
	v_add_u32_e32 v0, v5, v6
	v_lshrrev_b32_e32 v0, 1, v0
	v_lshlrev_b64 v[8:9], 2, v[0:1]
	v_add_co_u32_e32 v8, vcc, s8, v8
	v_addc_co_u32_e32 v9, vcc, v7, v9, vcc
	global_load_dword v8, v[8:9], off
	v_add_u32_e32 v9, 1, v0
	s_waitcnt vmcnt(0)
	v_cmp_gt_i32_e32 vcc, v8, v3
	v_cndmask_b32_e64 v10, 0, 1, vcc
	v_cmp_le_i32_e32 vcc, v3, v8
	v_cndmask_b32_e64 v8, 0, 1, vcc
	v_cndmask_b32_e64 v8, v8, v10, s[0:1]
	v_and_b32_e32 v8, 1, v8
	v_cmp_eq_u32_e32 vcc, 1, v8
	v_cndmask_b32_e32 v6, v0, v6, vcc
	v_cndmask_b32_e32 v5, v5, v9, vcc
	v_cmp_ge_u32_e32 vcc, v5, v6
	s_or_b64 s[2:3], vcc, s[2:3]
	s_andn2_b64 exec, exec, s[2:3]
	s_cbranch_execnz .LBB4_14
; %bb.15:
	s_or_b64 exec, exec, s[2:3]
.LBB4_16:
	v_add_u32_e32 v0, v5, v4
	v_mov_b32_e32 v1, 0
	v_lshlrev_b64 v[0:1], 2, v[0:1]
	v_mov_b32_e32 v6, s11
	v_add_co_u32_e32 v5, vcc, s10, v0
	v_addc_co_u32_e32 v6, vcc, v6, v1, vcc
	s_waitcnt vmcnt(0)
	global_store_dword v[5:6], v3, off
	v_mov_b32_e32 v5, s15
	v_add_co_u32_e32 v0, vcc, s14, v0
	v_addc_co_u32_e32 v1, vcc, v5, v1, vcc
	global_store_dword v[0:1], v2, off
.LBB4_17:
	s_or_b64 exec, exec, s[4:5]
	s_mov_b64 s[4:5], 0
.LBB4_18:
	s_andn2_b64 vcc, exec, s[4:5]
	s_cbranch_vccnz .LBB4_24
; %bb.19:
	s_cmp_ge_u32 s6, s12
	v_mov_b32_e32 v5, s7
	s_cbranch_scc1 .LBB4_23
; %bb.20:
	s_mov_b64 s[2:3], 0
	v_mov_b32_e32 v6, s12
	v_mov_b32_e32 v5, s7
	;; [unrolled: 1-line block ×4, first 2 shown]
.LBB4_21:                               ; =>This Inner Loop Header: Depth=1
	v_add_u32_e32 v0, v5, v6
	v_lshrrev_b32_e32 v0, 1, v0
	v_lshlrev_b64 v[8:9], 2, v[0:1]
	v_add_co_u32_e32 v8, vcc, s8, v8
	v_addc_co_u32_e32 v9, vcc, v7, v9, vcc
	global_load_dword v8, v[8:9], off
	v_add_u32_e32 v9, 1, v0
	s_waitcnt vmcnt(0)
	v_cmp_gt_i32_e32 vcc, v8, v3
	v_cndmask_b32_e64 v10, 0, 1, vcc
	v_cmp_le_i32_e32 vcc, v3, v8
	v_cndmask_b32_e64 v8, 0, 1, vcc
	v_cndmask_b32_e64 v8, v8, v10, s[0:1]
	v_and_b32_e32 v8, 1, v8
	v_cmp_eq_u32_e32 vcc, 1, v8
	v_cndmask_b32_e32 v6, v0, v6, vcc
	v_cndmask_b32_e32 v5, v5, v9, vcc
	v_cmp_ge_u32_e32 vcc, v5, v6
	s_or_b64 s[2:3], vcc, s[2:3]
	s_andn2_b64 exec, exec, s[2:3]
	s_cbranch_execnz .LBB4_21
; %bb.22:
	s_or_b64 exec, exec, s[2:3]
.LBB4_23:
	v_add_u32_e32 v0, v5, v4
	v_mov_b32_e32 v1, 0
	v_lshlrev_b64 v[0:1], 2, v[0:1]
	v_mov_b32_e32 v5, s11
	v_add_co_u32_e32 v4, vcc, s10, v0
	v_addc_co_u32_e32 v5, vcc, v5, v1, vcc
	s_waitcnt vmcnt(0)
	global_store_dword v[4:5], v3, off
	v_mov_b32_e32 v3, s15
	v_add_co_u32_e32 v0, vcc, s14, v0
	v_addc_co_u32_e32 v1, vcc, v3, v1, vcc
	global_store_dword v[0:1], v2, off
.LBB4_24:
	s_endpgm
	.section	.rodata,"a",@progbits
	.p2align	6, 0x0
	.amdhsa_kernel _ZN7rocprim17ROCPRIM_304000_NS6detail33device_block_merge_oddeven_kernelINS1_37wrapped_merge_sort_block_merge_configINS0_14default_configEiN2at4cuda3cub6detail10OpaqueTypeILi4EEEEEPiSC_PSA_SD_jNS1_19radix_merge_compareILb1ELb0EiNS0_19identity_decomposerEEEEEvT0_T1_T2_T3_T4_SL_T5_
		.amdhsa_group_segment_fixed_size 0
		.amdhsa_private_segment_fixed_size 0
		.amdhsa_kernarg_size 44
		.amdhsa_user_sgpr_count 6
		.amdhsa_user_sgpr_private_segment_buffer 1
		.amdhsa_user_sgpr_dispatch_ptr 0
		.amdhsa_user_sgpr_queue_ptr 0
		.amdhsa_user_sgpr_kernarg_segment_ptr 1
		.amdhsa_user_sgpr_dispatch_id 0
		.amdhsa_user_sgpr_flat_scratch_init 0
		.amdhsa_user_sgpr_private_segment_size 0
		.amdhsa_uses_dynamic_stack 0
		.amdhsa_system_sgpr_private_segment_wavefront_offset 0
		.amdhsa_system_sgpr_workgroup_id_x 1
		.amdhsa_system_sgpr_workgroup_id_y 0
		.amdhsa_system_sgpr_workgroup_id_z 0
		.amdhsa_system_sgpr_workgroup_info 0
		.amdhsa_system_vgpr_workitem_id 0
		.amdhsa_next_free_vgpr 11
		.amdhsa_next_free_sgpr 22
		.amdhsa_reserve_vcc 1
		.amdhsa_reserve_flat_scratch 0
		.amdhsa_float_round_mode_32 0
		.amdhsa_float_round_mode_16_64 0
		.amdhsa_float_denorm_mode_32 3
		.amdhsa_float_denorm_mode_16_64 3
		.amdhsa_dx10_clamp 1
		.amdhsa_ieee_mode 1
		.amdhsa_fp16_overflow 0
		.amdhsa_exception_fp_ieee_invalid_op 0
		.amdhsa_exception_fp_denorm_src 0
		.amdhsa_exception_fp_ieee_div_zero 0
		.amdhsa_exception_fp_ieee_overflow 0
		.amdhsa_exception_fp_ieee_underflow 0
		.amdhsa_exception_fp_ieee_inexact 0
		.amdhsa_exception_int_div_zero 0
	.end_amdhsa_kernel
	.section	.text._ZN7rocprim17ROCPRIM_304000_NS6detail33device_block_merge_oddeven_kernelINS1_37wrapped_merge_sort_block_merge_configINS0_14default_configEiN2at4cuda3cub6detail10OpaqueTypeILi4EEEEEPiSC_PSA_SD_jNS1_19radix_merge_compareILb1ELb0EiNS0_19identity_decomposerEEEEEvT0_T1_T2_T3_T4_SL_T5_,"axG",@progbits,_ZN7rocprim17ROCPRIM_304000_NS6detail33device_block_merge_oddeven_kernelINS1_37wrapped_merge_sort_block_merge_configINS0_14default_configEiN2at4cuda3cub6detail10OpaqueTypeILi4EEEEEPiSC_PSA_SD_jNS1_19radix_merge_compareILb1ELb0EiNS0_19identity_decomposerEEEEEvT0_T1_T2_T3_T4_SL_T5_,comdat
.Lfunc_end4:
	.size	_ZN7rocprim17ROCPRIM_304000_NS6detail33device_block_merge_oddeven_kernelINS1_37wrapped_merge_sort_block_merge_configINS0_14default_configEiN2at4cuda3cub6detail10OpaqueTypeILi4EEEEEPiSC_PSA_SD_jNS1_19radix_merge_compareILb1ELb0EiNS0_19identity_decomposerEEEEEvT0_T1_T2_T3_T4_SL_T5_, .Lfunc_end4-_ZN7rocprim17ROCPRIM_304000_NS6detail33device_block_merge_oddeven_kernelINS1_37wrapped_merge_sort_block_merge_configINS0_14default_configEiN2at4cuda3cub6detail10OpaqueTypeILi4EEEEEPiSC_PSA_SD_jNS1_19radix_merge_compareILb1ELb0EiNS0_19identity_decomposerEEEEEvT0_T1_T2_T3_T4_SL_T5_
                                        ; -- End function
	.set _ZN7rocprim17ROCPRIM_304000_NS6detail33device_block_merge_oddeven_kernelINS1_37wrapped_merge_sort_block_merge_configINS0_14default_configEiN2at4cuda3cub6detail10OpaqueTypeILi4EEEEEPiSC_PSA_SD_jNS1_19radix_merge_compareILb1ELb0EiNS0_19identity_decomposerEEEEEvT0_T1_T2_T3_T4_SL_T5_.num_vgpr, 11
	.set _ZN7rocprim17ROCPRIM_304000_NS6detail33device_block_merge_oddeven_kernelINS1_37wrapped_merge_sort_block_merge_configINS0_14default_configEiN2at4cuda3cub6detail10OpaqueTypeILi4EEEEEPiSC_PSA_SD_jNS1_19radix_merge_compareILb1ELb0EiNS0_19identity_decomposerEEEEEvT0_T1_T2_T3_T4_SL_T5_.num_agpr, 0
	.set _ZN7rocprim17ROCPRIM_304000_NS6detail33device_block_merge_oddeven_kernelINS1_37wrapped_merge_sort_block_merge_configINS0_14default_configEiN2at4cuda3cub6detail10OpaqueTypeILi4EEEEEPiSC_PSA_SD_jNS1_19radix_merge_compareILb1ELb0EiNS0_19identity_decomposerEEEEEvT0_T1_T2_T3_T4_SL_T5_.numbered_sgpr, 22
	.set _ZN7rocprim17ROCPRIM_304000_NS6detail33device_block_merge_oddeven_kernelINS1_37wrapped_merge_sort_block_merge_configINS0_14default_configEiN2at4cuda3cub6detail10OpaqueTypeILi4EEEEEPiSC_PSA_SD_jNS1_19radix_merge_compareILb1ELb0EiNS0_19identity_decomposerEEEEEvT0_T1_T2_T3_T4_SL_T5_.num_named_barrier, 0
	.set _ZN7rocprim17ROCPRIM_304000_NS6detail33device_block_merge_oddeven_kernelINS1_37wrapped_merge_sort_block_merge_configINS0_14default_configEiN2at4cuda3cub6detail10OpaqueTypeILi4EEEEEPiSC_PSA_SD_jNS1_19radix_merge_compareILb1ELb0EiNS0_19identity_decomposerEEEEEvT0_T1_T2_T3_T4_SL_T5_.private_seg_size, 0
	.set _ZN7rocprim17ROCPRIM_304000_NS6detail33device_block_merge_oddeven_kernelINS1_37wrapped_merge_sort_block_merge_configINS0_14default_configEiN2at4cuda3cub6detail10OpaqueTypeILi4EEEEEPiSC_PSA_SD_jNS1_19radix_merge_compareILb1ELb0EiNS0_19identity_decomposerEEEEEvT0_T1_T2_T3_T4_SL_T5_.uses_vcc, 1
	.set _ZN7rocprim17ROCPRIM_304000_NS6detail33device_block_merge_oddeven_kernelINS1_37wrapped_merge_sort_block_merge_configINS0_14default_configEiN2at4cuda3cub6detail10OpaqueTypeILi4EEEEEPiSC_PSA_SD_jNS1_19radix_merge_compareILb1ELb0EiNS0_19identity_decomposerEEEEEvT0_T1_T2_T3_T4_SL_T5_.uses_flat_scratch, 0
	.set _ZN7rocprim17ROCPRIM_304000_NS6detail33device_block_merge_oddeven_kernelINS1_37wrapped_merge_sort_block_merge_configINS0_14default_configEiN2at4cuda3cub6detail10OpaqueTypeILi4EEEEEPiSC_PSA_SD_jNS1_19radix_merge_compareILb1ELb0EiNS0_19identity_decomposerEEEEEvT0_T1_T2_T3_T4_SL_T5_.has_dyn_sized_stack, 0
	.set _ZN7rocprim17ROCPRIM_304000_NS6detail33device_block_merge_oddeven_kernelINS1_37wrapped_merge_sort_block_merge_configINS0_14default_configEiN2at4cuda3cub6detail10OpaqueTypeILi4EEEEEPiSC_PSA_SD_jNS1_19radix_merge_compareILb1ELb0EiNS0_19identity_decomposerEEEEEvT0_T1_T2_T3_T4_SL_T5_.has_recursion, 0
	.set _ZN7rocprim17ROCPRIM_304000_NS6detail33device_block_merge_oddeven_kernelINS1_37wrapped_merge_sort_block_merge_configINS0_14default_configEiN2at4cuda3cub6detail10OpaqueTypeILi4EEEEEPiSC_PSA_SD_jNS1_19radix_merge_compareILb1ELb0EiNS0_19identity_decomposerEEEEEvT0_T1_T2_T3_T4_SL_T5_.has_indirect_call, 0
	.section	.AMDGPU.csdata,"",@progbits
; Kernel info:
; codeLenInByte = 804
; TotalNumSgprs: 26
; NumVgprs: 11
; ScratchSize: 0
; MemoryBound: 0
; FloatMode: 240
; IeeeMode: 1
; LDSByteSize: 0 bytes/workgroup (compile time only)
; SGPRBlocks: 3
; VGPRBlocks: 2
; NumSGPRsForWavesPerEU: 26
; NumVGPRsForWavesPerEU: 11
; Occupancy: 10
; WaveLimiterHint : 0
; COMPUTE_PGM_RSRC2:SCRATCH_EN: 0
; COMPUTE_PGM_RSRC2:USER_SGPR: 6
; COMPUTE_PGM_RSRC2:TRAP_HANDLER: 0
; COMPUTE_PGM_RSRC2:TGID_X_EN: 1
; COMPUTE_PGM_RSRC2:TGID_Y_EN: 0
; COMPUTE_PGM_RSRC2:TGID_Z_EN: 0
; COMPUTE_PGM_RSRC2:TIDIG_COMP_CNT: 0
	.section	.text._ZN7rocprim17ROCPRIM_304000_NS6detail16transform_kernelINS1_24wrapped_transform_configINS0_14default_configEiEEiPiS6_NS0_8identityIiEEEEvT1_mT2_T3_,"axG",@progbits,_ZN7rocprim17ROCPRIM_304000_NS6detail16transform_kernelINS1_24wrapped_transform_configINS0_14default_configEiEEiPiS6_NS0_8identityIiEEEEvT1_mT2_T3_,comdat
	.protected	_ZN7rocprim17ROCPRIM_304000_NS6detail16transform_kernelINS1_24wrapped_transform_configINS0_14default_configEiEEiPiS6_NS0_8identityIiEEEEvT1_mT2_T3_ ; -- Begin function _ZN7rocprim17ROCPRIM_304000_NS6detail16transform_kernelINS1_24wrapped_transform_configINS0_14default_configEiEEiPiS6_NS0_8identityIiEEEEvT1_mT2_T3_
	.globl	_ZN7rocprim17ROCPRIM_304000_NS6detail16transform_kernelINS1_24wrapped_transform_configINS0_14default_configEiEEiPiS6_NS0_8identityIiEEEEvT1_mT2_T3_
	.p2align	8
	.type	_ZN7rocprim17ROCPRIM_304000_NS6detail16transform_kernelINS1_24wrapped_transform_configINS0_14default_configEiEEiPiS6_NS0_8identityIiEEEEvT1_mT2_T3_,@function
_ZN7rocprim17ROCPRIM_304000_NS6detail16transform_kernelINS1_24wrapped_transform_configINS0_14default_configEiEEiPiS6_NS0_8identityIiEEEEvT1_mT2_T3_: ; @_ZN7rocprim17ROCPRIM_304000_NS6detail16transform_kernelINS1_24wrapped_transform_configINS0_14default_configEiEEiPiS6_NS0_8identityIiEEEEvT1_mT2_T3_
; %bb.0:
	s_load_dword s7, s[4:5], 0x20
	s_load_dwordx4 s[0:3], s[4:5], 0x0
	s_load_dwordx2 s[8:9], s[4:5], 0x10
	s_lshl_b32 s10, s6, 11
	s_mov_b32 s11, 0
	s_waitcnt lgkmcnt(0)
	s_add_i32 s7, s7, -1
	s_lshl_b64 s[4:5], s[10:11], 2
	s_add_u32 s0, s0, s4
	s_addc_u32 s1, s1, s5
	v_lshlrev_b32_e32 v5, 2, v0
	v_mov_b32_e32 v2, s1
	v_add_co_u32_e32 v1, vcc, s0, v5
	s_cmp_lg_u32 s6, s7
	v_addc_co_u32_e32 v2, vcc, 0, v2, vcc
	s_cbranch_scc0 .LBB5_2
; %bb.1:
	v_add_co_u32_e32 v3, vcc, 0x1000, v1
	global_load_dword v6, v[1:2], off
	v_addc_co_u32_e32 v4, vcc, 0, v2, vcc
	global_load_dword v3, v[3:4], off
	s_add_u32 s0, s8, s4
	s_addc_u32 s1, s9, s5
	s_mov_b64 s[6:7], -1
	s_waitcnt vmcnt(1)
	global_store_dword v5, v6, s[0:1]
	s_cbranch_execz .LBB5_3
	s_branch .LBB5_10
.LBB5_2:
	s_mov_b64 s[6:7], 0
                                        ; implicit-def: $vgpr3
.LBB5_3:
	s_sub_i32 s10, s2, s10
	s_waitcnt vmcnt(1)
	v_mov_b32_e32 v3, 0
	v_cmp_gt_u32_e64 s[0:1], s10, v0
	v_mov_b32_e32 v4, v3
	s_and_saveexec_b64 s[2:3], s[0:1]
	s_cbranch_execz .LBB5_5
; %bb.4:
	global_load_dword v6, v[1:2], off
	v_mov_b32_e32 v7, v3
	s_waitcnt vmcnt(0)
	v_mov_b32_e32 v3, v6
	v_mov_b32_e32 v4, v7
.LBB5_5:
	s_or_b64 exec, exec, s[2:3]
	v_or_b32_e32 v0, 0x400, v0
	v_cmp_gt_u32_e64 s[2:3], s10, v0
	s_and_saveexec_b64 s[10:11], s[2:3]
	s_cbranch_execnz .LBB5_13
; %bb.6:
	s_or_b64 exec, exec, s[10:11]
	v_cndmask_b32_e64 v0, 0, v3, s[0:1]
	s_and_saveexec_b64 s[10:11], s[0:1]
	s_cbranch_execnz .LBB5_14
.LBB5_7:
	s_or_b64 exec, exec, s[10:11]
                                        ; implicit-def: $vgpr3
	s_and_saveexec_b64 s[0:1], s[2:3]
	s_cbranch_execz .LBB5_9
.LBB5_8:
	s_waitcnt vmcnt(0)
	v_cndmask_b32_e64 v3, 0, v4, s[2:3]
	s_or_b64 s[6:7], s[6:7], exec
.LBB5_9:
	s_or_b64 exec, exec, s[0:1]
.LBB5_10:
	s_and_saveexec_b64 s[0:1], s[6:7]
	s_cbranch_execnz .LBB5_12
; %bb.11:
	s_endpgm
.LBB5_12:
	s_add_u32 s0, s8, s4
	s_addc_u32 s1, s9, s5
	v_mov_b32_e32 v0, s1
	v_add_co_u32_e32 v1, vcc, s0, v5
	v_addc_co_u32_e32 v2, vcc, 0, v0, vcc
	v_add_co_u32_e32 v0, vcc, 0x1000, v1
	v_addc_co_u32_e32 v1, vcc, 0, v2, vcc
	s_waitcnt vmcnt(1)
	global_store_dword v[0:1], v3, off
	s_endpgm
.LBB5_13:
	v_add_co_u32_e32 v0, vcc, 0x1000, v1
	v_addc_co_u32_e32 v1, vcc, 0, v2, vcc
	global_load_dword v4, v[0:1], off
	s_or_b64 exec, exec, s[10:11]
	v_cndmask_b32_e64 v0, 0, v3, s[0:1]
	s_and_saveexec_b64 s[10:11], s[0:1]
	s_cbranch_execz .LBB5_7
.LBB5_14:
	s_add_u32 s0, s8, s4
	s_addc_u32 s1, s9, s5
	global_store_dword v5, v0, s[0:1]
	s_or_b64 exec, exec, s[10:11]
                                        ; implicit-def: $vgpr3
	s_and_saveexec_b64 s[0:1], s[2:3]
	s_cbranch_execnz .LBB5_8
	s_branch .LBB5_9
	.section	.rodata,"a",@progbits
	.p2align	6, 0x0
	.amdhsa_kernel _ZN7rocprim17ROCPRIM_304000_NS6detail16transform_kernelINS1_24wrapped_transform_configINS0_14default_configEiEEiPiS6_NS0_8identityIiEEEEvT1_mT2_T3_
		.amdhsa_group_segment_fixed_size 0
		.amdhsa_private_segment_fixed_size 0
		.amdhsa_kernarg_size 288
		.amdhsa_user_sgpr_count 6
		.amdhsa_user_sgpr_private_segment_buffer 1
		.amdhsa_user_sgpr_dispatch_ptr 0
		.amdhsa_user_sgpr_queue_ptr 0
		.amdhsa_user_sgpr_kernarg_segment_ptr 1
		.amdhsa_user_sgpr_dispatch_id 0
		.amdhsa_user_sgpr_flat_scratch_init 0
		.amdhsa_user_sgpr_private_segment_size 0
		.amdhsa_uses_dynamic_stack 0
		.amdhsa_system_sgpr_private_segment_wavefront_offset 0
		.amdhsa_system_sgpr_workgroup_id_x 1
		.amdhsa_system_sgpr_workgroup_id_y 0
		.amdhsa_system_sgpr_workgroup_id_z 0
		.amdhsa_system_sgpr_workgroup_info 0
		.amdhsa_system_vgpr_workitem_id 0
		.amdhsa_next_free_vgpr 8
		.amdhsa_next_free_sgpr 12
		.amdhsa_reserve_vcc 1
		.amdhsa_reserve_flat_scratch 0
		.amdhsa_float_round_mode_32 0
		.amdhsa_float_round_mode_16_64 0
		.amdhsa_float_denorm_mode_32 3
		.amdhsa_float_denorm_mode_16_64 3
		.amdhsa_dx10_clamp 1
		.amdhsa_ieee_mode 1
		.amdhsa_fp16_overflow 0
		.amdhsa_exception_fp_ieee_invalid_op 0
		.amdhsa_exception_fp_denorm_src 0
		.amdhsa_exception_fp_ieee_div_zero 0
		.amdhsa_exception_fp_ieee_overflow 0
		.amdhsa_exception_fp_ieee_underflow 0
		.amdhsa_exception_fp_ieee_inexact 0
		.amdhsa_exception_int_div_zero 0
	.end_amdhsa_kernel
	.section	.text._ZN7rocprim17ROCPRIM_304000_NS6detail16transform_kernelINS1_24wrapped_transform_configINS0_14default_configEiEEiPiS6_NS0_8identityIiEEEEvT1_mT2_T3_,"axG",@progbits,_ZN7rocprim17ROCPRIM_304000_NS6detail16transform_kernelINS1_24wrapped_transform_configINS0_14default_configEiEEiPiS6_NS0_8identityIiEEEEvT1_mT2_T3_,comdat
.Lfunc_end5:
	.size	_ZN7rocprim17ROCPRIM_304000_NS6detail16transform_kernelINS1_24wrapped_transform_configINS0_14default_configEiEEiPiS6_NS0_8identityIiEEEEvT1_mT2_T3_, .Lfunc_end5-_ZN7rocprim17ROCPRIM_304000_NS6detail16transform_kernelINS1_24wrapped_transform_configINS0_14default_configEiEEiPiS6_NS0_8identityIiEEEEvT1_mT2_T3_
                                        ; -- End function
	.set _ZN7rocprim17ROCPRIM_304000_NS6detail16transform_kernelINS1_24wrapped_transform_configINS0_14default_configEiEEiPiS6_NS0_8identityIiEEEEvT1_mT2_T3_.num_vgpr, 8
	.set _ZN7rocprim17ROCPRIM_304000_NS6detail16transform_kernelINS1_24wrapped_transform_configINS0_14default_configEiEEiPiS6_NS0_8identityIiEEEEvT1_mT2_T3_.num_agpr, 0
	.set _ZN7rocprim17ROCPRIM_304000_NS6detail16transform_kernelINS1_24wrapped_transform_configINS0_14default_configEiEEiPiS6_NS0_8identityIiEEEEvT1_mT2_T3_.numbered_sgpr, 12
	.set _ZN7rocprim17ROCPRIM_304000_NS6detail16transform_kernelINS1_24wrapped_transform_configINS0_14default_configEiEEiPiS6_NS0_8identityIiEEEEvT1_mT2_T3_.num_named_barrier, 0
	.set _ZN7rocprim17ROCPRIM_304000_NS6detail16transform_kernelINS1_24wrapped_transform_configINS0_14default_configEiEEiPiS6_NS0_8identityIiEEEEvT1_mT2_T3_.private_seg_size, 0
	.set _ZN7rocprim17ROCPRIM_304000_NS6detail16transform_kernelINS1_24wrapped_transform_configINS0_14default_configEiEEiPiS6_NS0_8identityIiEEEEvT1_mT2_T3_.uses_vcc, 1
	.set _ZN7rocprim17ROCPRIM_304000_NS6detail16transform_kernelINS1_24wrapped_transform_configINS0_14default_configEiEEiPiS6_NS0_8identityIiEEEEvT1_mT2_T3_.uses_flat_scratch, 0
	.set _ZN7rocprim17ROCPRIM_304000_NS6detail16transform_kernelINS1_24wrapped_transform_configINS0_14default_configEiEEiPiS6_NS0_8identityIiEEEEvT1_mT2_T3_.has_dyn_sized_stack, 0
	.set _ZN7rocprim17ROCPRIM_304000_NS6detail16transform_kernelINS1_24wrapped_transform_configINS0_14default_configEiEEiPiS6_NS0_8identityIiEEEEvT1_mT2_T3_.has_recursion, 0
	.set _ZN7rocprim17ROCPRIM_304000_NS6detail16transform_kernelINS1_24wrapped_transform_configINS0_14default_configEiEEiPiS6_NS0_8identityIiEEEEvT1_mT2_T3_.has_indirect_call, 0
	.section	.AMDGPU.csdata,"",@progbits
; Kernel info:
; codeLenInByte = 408
; TotalNumSgprs: 16
; NumVgprs: 8
; ScratchSize: 0
; MemoryBound: 0
; FloatMode: 240
; IeeeMode: 1
; LDSByteSize: 0 bytes/workgroup (compile time only)
; SGPRBlocks: 1
; VGPRBlocks: 1
; NumSGPRsForWavesPerEU: 16
; NumVGPRsForWavesPerEU: 8
; Occupancy: 10
; WaveLimiterHint : 1
; COMPUTE_PGM_RSRC2:SCRATCH_EN: 0
; COMPUTE_PGM_RSRC2:USER_SGPR: 6
; COMPUTE_PGM_RSRC2:TRAP_HANDLER: 0
; COMPUTE_PGM_RSRC2:TGID_X_EN: 1
; COMPUTE_PGM_RSRC2:TGID_Y_EN: 0
; COMPUTE_PGM_RSRC2:TGID_Z_EN: 0
; COMPUTE_PGM_RSRC2:TIDIG_COMP_CNT: 0
	.section	.text._ZN7rocprim17ROCPRIM_304000_NS6detail16transform_kernelINS1_24wrapped_transform_configINS0_14default_configEN2at4cuda3cub6detail10OpaqueTypeILi4EEEEESA_PSA_SC_NS0_8identityISA_EEEEvT1_mT2_T3_,"axG",@progbits,_ZN7rocprim17ROCPRIM_304000_NS6detail16transform_kernelINS1_24wrapped_transform_configINS0_14default_configEN2at4cuda3cub6detail10OpaqueTypeILi4EEEEESA_PSA_SC_NS0_8identityISA_EEEEvT1_mT2_T3_,comdat
	.protected	_ZN7rocprim17ROCPRIM_304000_NS6detail16transform_kernelINS1_24wrapped_transform_configINS0_14default_configEN2at4cuda3cub6detail10OpaqueTypeILi4EEEEESA_PSA_SC_NS0_8identityISA_EEEEvT1_mT2_T3_ ; -- Begin function _ZN7rocprim17ROCPRIM_304000_NS6detail16transform_kernelINS1_24wrapped_transform_configINS0_14default_configEN2at4cuda3cub6detail10OpaqueTypeILi4EEEEESA_PSA_SC_NS0_8identityISA_EEEEvT1_mT2_T3_
	.globl	_ZN7rocprim17ROCPRIM_304000_NS6detail16transform_kernelINS1_24wrapped_transform_configINS0_14default_configEN2at4cuda3cub6detail10OpaqueTypeILi4EEEEESA_PSA_SC_NS0_8identityISA_EEEEvT1_mT2_T3_
	.p2align	8
	.type	_ZN7rocprim17ROCPRIM_304000_NS6detail16transform_kernelINS1_24wrapped_transform_configINS0_14default_configEN2at4cuda3cub6detail10OpaqueTypeILi4EEEEESA_PSA_SC_NS0_8identityISA_EEEEvT1_mT2_T3_,@function
_ZN7rocprim17ROCPRIM_304000_NS6detail16transform_kernelINS1_24wrapped_transform_configINS0_14default_configEN2at4cuda3cub6detail10OpaqueTypeILi4EEEEESA_PSA_SC_NS0_8identityISA_EEEEvT1_mT2_T3_: ; @_ZN7rocprim17ROCPRIM_304000_NS6detail16transform_kernelINS1_24wrapped_transform_configINS0_14default_configEN2at4cuda3cub6detail10OpaqueTypeILi4EEEEESA_PSA_SC_NS0_8identityISA_EEEEvT1_mT2_T3_
; %bb.0:
	s_load_dword s7, s[4:5], 0x20
	s_load_dwordx4 s[0:3], s[4:5], 0x0
	s_load_dwordx2 s[8:9], s[4:5], 0x10
	s_lshl_b32 s10, s6, 11
	s_mov_b32 s11, 0
	s_waitcnt lgkmcnt(0)
	s_add_i32 s7, s7, -1
	s_lshl_b64 s[4:5], s[10:11], 2
	s_add_u32 s0, s0, s4
	s_addc_u32 s1, s1, s5
	v_lshlrev_b32_e32 v3, 2, v0
	v_mov_b32_e32 v2, s1
	v_add_co_u32_e32 v1, vcc, s0, v3
	s_cmp_lg_u32 s6, s7
	v_addc_co_u32_e32 v2, vcc, 0, v2, vcc
	s_cbranch_scc0 .LBB6_2
; %bb.1:
	v_add_co_u32_e32 v4, vcc, 0x1000, v1
	global_load_dword v6, v[1:2], off
	v_addc_co_u32_e32 v5, vcc, 0, v2, vcc
	global_load_dword v4, v[4:5], off
	s_add_u32 s0, s8, s4
	s_addc_u32 s1, s9, s5
	s_mov_b64 s[6:7], -1
	s_waitcnt vmcnt(1)
	global_store_dword v3, v6, s[0:1]
	s_cbranch_execz .LBB6_3
	s_branch .LBB6_10
.LBB6_2:
	s_mov_b64 s[6:7], 0
                                        ; implicit-def: $vgpr4
.LBB6_3:
	s_sub_i32 s6, s2, s10
	v_cmp_gt_u32_e64 s[0:1], s6, v0
                                        ; implicit-def: $vgpr5
	s_and_saveexec_b64 s[2:3], s[0:1]
	s_cbranch_execz .LBB6_5
; %bb.4:
	global_load_dword v5, v[1:2], off
.LBB6_5:
	s_or_b64 exec, exec, s[2:3]
	v_or_b32_e32 v0, 0x400, v0
	v_cmp_gt_u32_e64 s[6:7], s6, v0
                                        ; implicit-def: $vgpr4
	s_and_saveexec_b64 s[2:3], s[6:7]
	s_cbranch_execz .LBB6_7
; %bb.6:
	v_add_co_u32_e32 v0, vcc, 0x1000, v1
	v_addc_co_u32_e32 v1, vcc, 0, v2, vcc
	global_load_dword v4, v[0:1], off
.LBB6_7:
	s_or_b64 exec, exec, s[2:3]
	s_and_saveexec_b64 s[2:3], s[0:1]
	s_cbranch_execz .LBB6_9
; %bb.8:
	s_add_u32 s0, s8, s4
	s_addc_u32 s1, s9, s5
	s_waitcnt vmcnt(0)
	global_store_dword v3, v5, s[0:1]
.LBB6_9:
	s_or_b64 exec, exec, s[2:3]
.LBB6_10:
	s_and_saveexec_b64 s[0:1], s[6:7]
	s_cbranch_execnz .LBB6_12
; %bb.11:
	s_endpgm
.LBB6_12:
	s_add_u32 s0, s8, s4
	s_addc_u32 s1, s9, s5
	v_mov_b32_e32 v0, s1
	v_add_co_u32_e32 v1, vcc, s0, v3
	v_addc_co_u32_e32 v2, vcc, 0, v0, vcc
	v_add_co_u32_e32 v0, vcc, 0x1000, v1
	v_addc_co_u32_e32 v1, vcc, 0, v2, vcc
	s_waitcnt vmcnt(0)
	global_store_dword v[0:1], v4, off
	s_endpgm
	.section	.rodata,"a",@progbits
	.p2align	6, 0x0
	.amdhsa_kernel _ZN7rocprim17ROCPRIM_304000_NS6detail16transform_kernelINS1_24wrapped_transform_configINS0_14default_configEN2at4cuda3cub6detail10OpaqueTypeILi4EEEEESA_PSA_SC_NS0_8identityISA_EEEEvT1_mT2_T3_
		.amdhsa_group_segment_fixed_size 0
		.amdhsa_private_segment_fixed_size 0
		.amdhsa_kernarg_size 288
		.amdhsa_user_sgpr_count 6
		.amdhsa_user_sgpr_private_segment_buffer 1
		.amdhsa_user_sgpr_dispatch_ptr 0
		.amdhsa_user_sgpr_queue_ptr 0
		.amdhsa_user_sgpr_kernarg_segment_ptr 1
		.amdhsa_user_sgpr_dispatch_id 0
		.amdhsa_user_sgpr_flat_scratch_init 0
		.amdhsa_user_sgpr_private_segment_size 0
		.amdhsa_uses_dynamic_stack 0
		.amdhsa_system_sgpr_private_segment_wavefront_offset 0
		.amdhsa_system_sgpr_workgroup_id_x 1
		.amdhsa_system_sgpr_workgroup_id_y 0
		.amdhsa_system_sgpr_workgroup_id_z 0
		.amdhsa_system_sgpr_workgroup_info 0
		.amdhsa_system_vgpr_workitem_id 0
		.amdhsa_next_free_vgpr 7
		.amdhsa_next_free_sgpr 12
		.amdhsa_reserve_vcc 1
		.amdhsa_reserve_flat_scratch 0
		.amdhsa_float_round_mode_32 0
		.amdhsa_float_round_mode_16_64 0
		.amdhsa_float_denorm_mode_32 3
		.amdhsa_float_denorm_mode_16_64 3
		.amdhsa_dx10_clamp 1
		.amdhsa_ieee_mode 1
		.amdhsa_fp16_overflow 0
		.amdhsa_exception_fp_ieee_invalid_op 0
		.amdhsa_exception_fp_denorm_src 0
		.amdhsa_exception_fp_ieee_div_zero 0
		.amdhsa_exception_fp_ieee_overflow 0
		.amdhsa_exception_fp_ieee_underflow 0
		.amdhsa_exception_fp_ieee_inexact 0
		.amdhsa_exception_int_div_zero 0
	.end_amdhsa_kernel
	.section	.text._ZN7rocprim17ROCPRIM_304000_NS6detail16transform_kernelINS1_24wrapped_transform_configINS0_14default_configEN2at4cuda3cub6detail10OpaqueTypeILi4EEEEESA_PSA_SC_NS0_8identityISA_EEEEvT1_mT2_T3_,"axG",@progbits,_ZN7rocprim17ROCPRIM_304000_NS6detail16transform_kernelINS1_24wrapped_transform_configINS0_14default_configEN2at4cuda3cub6detail10OpaqueTypeILi4EEEEESA_PSA_SC_NS0_8identityISA_EEEEvT1_mT2_T3_,comdat
.Lfunc_end6:
	.size	_ZN7rocprim17ROCPRIM_304000_NS6detail16transform_kernelINS1_24wrapped_transform_configINS0_14default_configEN2at4cuda3cub6detail10OpaqueTypeILi4EEEEESA_PSA_SC_NS0_8identityISA_EEEEvT1_mT2_T3_, .Lfunc_end6-_ZN7rocprim17ROCPRIM_304000_NS6detail16transform_kernelINS1_24wrapped_transform_configINS0_14default_configEN2at4cuda3cub6detail10OpaqueTypeILi4EEEEESA_PSA_SC_NS0_8identityISA_EEEEvT1_mT2_T3_
                                        ; -- End function
	.set _ZN7rocprim17ROCPRIM_304000_NS6detail16transform_kernelINS1_24wrapped_transform_configINS0_14default_configEN2at4cuda3cub6detail10OpaqueTypeILi4EEEEESA_PSA_SC_NS0_8identityISA_EEEEvT1_mT2_T3_.num_vgpr, 7
	.set _ZN7rocprim17ROCPRIM_304000_NS6detail16transform_kernelINS1_24wrapped_transform_configINS0_14default_configEN2at4cuda3cub6detail10OpaqueTypeILi4EEEEESA_PSA_SC_NS0_8identityISA_EEEEvT1_mT2_T3_.num_agpr, 0
	.set _ZN7rocprim17ROCPRIM_304000_NS6detail16transform_kernelINS1_24wrapped_transform_configINS0_14default_configEN2at4cuda3cub6detail10OpaqueTypeILi4EEEEESA_PSA_SC_NS0_8identityISA_EEEEvT1_mT2_T3_.numbered_sgpr, 12
	.set _ZN7rocprim17ROCPRIM_304000_NS6detail16transform_kernelINS1_24wrapped_transform_configINS0_14default_configEN2at4cuda3cub6detail10OpaqueTypeILi4EEEEESA_PSA_SC_NS0_8identityISA_EEEEvT1_mT2_T3_.num_named_barrier, 0
	.set _ZN7rocprim17ROCPRIM_304000_NS6detail16transform_kernelINS1_24wrapped_transform_configINS0_14default_configEN2at4cuda3cub6detail10OpaqueTypeILi4EEEEESA_PSA_SC_NS0_8identityISA_EEEEvT1_mT2_T3_.private_seg_size, 0
	.set _ZN7rocprim17ROCPRIM_304000_NS6detail16transform_kernelINS1_24wrapped_transform_configINS0_14default_configEN2at4cuda3cub6detail10OpaqueTypeILi4EEEEESA_PSA_SC_NS0_8identityISA_EEEEvT1_mT2_T3_.uses_vcc, 1
	.set _ZN7rocprim17ROCPRIM_304000_NS6detail16transform_kernelINS1_24wrapped_transform_configINS0_14default_configEN2at4cuda3cub6detail10OpaqueTypeILi4EEEEESA_PSA_SC_NS0_8identityISA_EEEEvT1_mT2_T3_.uses_flat_scratch, 0
	.set _ZN7rocprim17ROCPRIM_304000_NS6detail16transform_kernelINS1_24wrapped_transform_configINS0_14default_configEN2at4cuda3cub6detail10OpaqueTypeILi4EEEEESA_PSA_SC_NS0_8identityISA_EEEEvT1_mT2_T3_.has_dyn_sized_stack, 0
	.set _ZN7rocprim17ROCPRIM_304000_NS6detail16transform_kernelINS1_24wrapped_transform_configINS0_14default_configEN2at4cuda3cub6detail10OpaqueTypeILi4EEEEESA_PSA_SC_NS0_8identityISA_EEEEvT1_mT2_T3_.has_recursion, 0
	.set _ZN7rocprim17ROCPRIM_304000_NS6detail16transform_kernelINS1_24wrapped_transform_configINS0_14default_configEN2at4cuda3cub6detail10OpaqueTypeILi4EEEEESA_PSA_SC_NS0_8identityISA_EEEEvT1_mT2_T3_.has_indirect_call, 0
	.section	.AMDGPU.csdata,"",@progbits
; Kernel info:
; codeLenInByte = 312
; TotalNumSgprs: 16
; NumVgprs: 7
; ScratchSize: 0
; MemoryBound: 0
; FloatMode: 240
; IeeeMode: 1
; LDSByteSize: 0 bytes/workgroup (compile time only)
; SGPRBlocks: 1
; VGPRBlocks: 1
; NumSGPRsForWavesPerEU: 16
; NumVGPRsForWavesPerEU: 7
; Occupancy: 10
; WaveLimiterHint : 1
; COMPUTE_PGM_RSRC2:SCRATCH_EN: 0
; COMPUTE_PGM_RSRC2:USER_SGPR: 6
; COMPUTE_PGM_RSRC2:TRAP_HANDLER: 0
; COMPUTE_PGM_RSRC2:TGID_X_EN: 1
; COMPUTE_PGM_RSRC2:TGID_Y_EN: 0
; COMPUTE_PGM_RSRC2:TGID_Z_EN: 0
; COMPUTE_PGM_RSRC2:TIDIG_COMP_CNT: 0
	.section	.text._ZN7rocprim17ROCPRIM_304000_NS6detail45device_block_merge_mergepath_partition_kernelINS1_37wrapped_merge_sort_block_merge_configINS0_14default_configEiN2at4cuda3cub6detail10OpaqueTypeILi4EEEEEPijNS1_19radix_merge_compareILb1ELb1EiNS0_19identity_decomposerEEEEEvT0_T1_jPSH_T2_SH_,"axG",@progbits,_ZN7rocprim17ROCPRIM_304000_NS6detail45device_block_merge_mergepath_partition_kernelINS1_37wrapped_merge_sort_block_merge_configINS0_14default_configEiN2at4cuda3cub6detail10OpaqueTypeILi4EEEEEPijNS1_19radix_merge_compareILb1ELb1EiNS0_19identity_decomposerEEEEEvT0_T1_jPSH_T2_SH_,comdat
	.protected	_ZN7rocprim17ROCPRIM_304000_NS6detail45device_block_merge_mergepath_partition_kernelINS1_37wrapped_merge_sort_block_merge_configINS0_14default_configEiN2at4cuda3cub6detail10OpaqueTypeILi4EEEEEPijNS1_19radix_merge_compareILb1ELb1EiNS0_19identity_decomposerEEEEEvT0_T1_jPSH_T2_SH_ ; -- Begin function _ZN7rocprim17ROCPRIM_304000_NS6detail45device_block_merge_mergepath_partition_kernelINS1_37wrapped_merge_sort_block_merge_configINS0_14default_configEiN2at4cuda3cub6detail10OpaqueTypeILi4EEEEEPijNS1_19radix_merge_compareILb1ELb1EiNS0_19identity_decomposerEEEEEvT0_T1_jPSH_T2_SH_
	.globl	_ZN7rocprim17ROCPRIM_304000_NS6detail45device_block_merge_mergepath_partition_kernelINS1_37wrapped_merge_sort_block_merge_configINS0_14default_configEiN2at4cuda3cub6detail10OpaqueTypeILi4EEEEEPijNS1_19radix_merge_compareILb1ELb1EiNS0_19identity_decomposerEEEEEvT0_T1_jPSH_T2_SH_
	.p2align	8
	.type	_ZN7rocprim17ROCPRIM_304000_NS6detail45device_block_merge_mergepath_partition_kernelINS1_37wrapped_merge_sort_block_merge_configINS0_14default_configEiN2at4cuda3cub6detail10OpaqueTypeILi4EEEEEPijNS1_19radix_merge_compareILb1ELb1EiNS0_19identity_decomposerEEEEEvT0_T1_jPSH_T2_SH_,@function
_ZN7rocprim17ROCPRIM_304000_NS6detail45device_block_merge_mergepath_partition_kernelINS1_37wrapped_merge_sort_block_merge_configINS0_14default_configEiN2at4cuda3cub6detail10OpaqueTypeILi4EEEEEPijNS1_19radix_merge_compareILb1ELb1EiNS0_19identity_decomposerEEEEEvT0_T1_jPSH_T2_SH_: ; @_ZN7rocprim17ROCPRIM_304000_NS6detail45device_block_merge_mergepath_partition_kernelINS1_37wrapped_merge_sort_block_merge_configINS0_14default_configEiN2at4cuda3cub6detail10OpaqueTypeILi4EEEEEPijNS1_19radix_merge_compareILb1ELb1EiNS0_19identity_decomposerEEEEEvT0_T1_jPSH_T2_SH_
; %bb.0:
	s_load_dwordx2 s[2:3], s[4:5], 0x8
	v_lshl_or_b32 v0, s6, 7, v0
	s_waitcnt lgkmcnt(0)
	v_cmp_gt_u32_e32 vcc, s3, v0
	s_and_saveexec_b64 s[0:1], vcc
	s_cbranch_execz .LBB7_6
; %bb.1:
	s_load_dwordx2 s[0:1], s[4:5], 0x18
	s_waitcnt lgkmcnt(0)
	s_lshr_b32 s3, s1, 9
	s_and_b32 s3, s3, 0x7ffffe
	s_add_i32 s6, s3, -1
	s_sub_i32 s3, 0, s3
	v_and_b32_e32 v1, s3, v0
	v_lshlrev_b32_e32 v3, 10, v1
	v_min_u32_e32 v1, s2, v3
	v_add_u32_e32 v3, s1, v3
	v_min_u32_e32 v3, s2, v3
	v_add_u32_e32 v4, s1, v3
	v_and_b32_e32 v2, s6, v0
	v_min_u32_e32 v4, s2, v4
	v_lshlrev_b32_e32 v2, 10, v2
	v_sub_u32_e32 v5, v4, v1
	v_min_u32_e32 v6, v5, v2
	v_sub_u32_e32 v2, v3, v1
	v_sub_u32_e32 v4, v4, v3
	v_sub_u32_e64 v5, v6, v4 clamp
	v_min_u32_e32 v7, v6, v2
	v_cmp_lt_u32_e32 vcc, v5, v7
	s_and_saveexec_b64 s[2:3], vcc
	s_cbranch_execz .LBB7_5
; %bb.2:
	s_load_dwordx2 s[6:7], s[4:5], 0x0
	v_mov_b32_e32 v4, 0
	v_mov_b32_e32 v2, v4
	v_lshlrev_b64 v[8:9], 2, v[1:2]
	s_waitcnt lgkmcnt(0)
	v_mov_b32_e32 v11, s7
	v_add_co_u32_e32 v2, vcc, s6, v8
	v_addc_co_u32_e32 v8, vcc, v11, v9, vcc
	v_lshlrev_b64 v[9:10], 2, v[3:4]
	v_add_co_u32_e32 v9, vcc, s6, v9
	v_addc_co_u32_e32 v10, vcc, v11, v10, vcc
	s_mov_b64 s[6:7], 0
.LBB7_3:                                ; =>This Inner Loop Header: Depth=1
	v_add_u32_e32 v3, v7, v5
	v_lshrrev_b32_e32 v3, 1, v3
	v_lshlrev_b64 v[13:14], 2, v[3:4]
	v_mov_b32_e32 v12, v4
	v_xad_u32 v11, v3, -1, v6
	v_lshlrev_b64 v[11:12], 2, v[11:12]
	v_add_co_u32_e32 v13, vcc, v2, v13
	v_addc_co_u32_e32 v14, vcc, v8, v14, vcc
	v_add_co_u32_e32 v11, vcc, v9, v11
	v_addc_co_u32_e32 v12, vcc, v10, v12, vcc
	global_load_dword v15, v[13:14], off
	global_load_dword v16, v[11:12], off
	v_add_u32_e32 v11, 1, v3
	s_waitcnt vmcnt(1)
	v_and_b32_e32 v12, s0, v15
	s_waitcnt vmcnt(0)
	v_and_b32_e32 v13, s0, v16
	v_cmp_gt_i32_e32 vcc, v13, v12
	v_cndmask_b32_e32 v7, v7, v3, vcc
	v_cndmask_b32_e32 v5, v11, v5, vcc
	v_cmp_ge_u32_e32 vcc, v5, v7
	s_or_b64 s[6:7], vcc, s[6:7]
	s_andn2_b64 exec, exec, s[6:7]
	s_cbranch_execnz .LBB7_3
; %bb.4:
	s_or_b64 exec, exec, s[6:7]
.LBB7_5:
	s_or_b64 exec, exec, s[2:3]
	s_load_dwordx2 s[0:1], s[4:5], 0x10
	v_add_u32_e32 v2, v5, v1
	v_mov_b32_e32 v1, 0
	v_lshlrev_b64 v[0:1], 2, v[0:1]
	s_waitcnt lgkmcnt(0)
	v_mov_b32_e32 v3, s1
	v_add_co_u32_e32 v0, vcc, s0, v0
	v_addc_co_u32_e32 v1, vcc, v3, v1, vcc
	global_store_dword v[0:1], v2, off
.LBB7_6:
	s_endpgm
	.section	.rodata,"a",@progbits
	.p2align	6, 0x0
	.amdhsa_kernel _ZN7rocprim17ROCPRIM_304000_NS6detail45device_block_merge_mergepath_partition_kernelINS1_37wrapped_merge_sort_block_merge_configINS0_14default_configEiN2at4cuda3cub6detail10OpaqueTypeILi4EEEEEPijNS1_19radix_merge_compareILb1ELb1EiNS0_19identity_decomposerEEEEEvT0_T1_jPSH_T2_SH_
		.amdhsa_group_segment_fixed_size 0
		.amdhsa_private_segment_fixed_size 0
		.amdhsa_kernarg_size 32
		.amdhsa_user_sgpr_count 6
		.amdhsa_user_sgpr_private_segment_buffer 1
		.amdhsa_user_sgpr_dispatch_ptr 0
		.amdhsa_user_sgpr_queue_ptr 0
		.amdhsa_user_sgpr_kernarg_segment_ptr 1
		.amdhsa_user_sgpr_dispatch_id 0
		.amdhsa_user_sgpr_flat_scratch_init 0
		.amdhsa_user_sgpr_private_segment_size 0
		.amdhsa_uses_dynamic_stack 0
		.amdhsa_system_sgpr_private_segment_wavefront_offset 0
		.amdhsa_system_sgpr_workgroup_id_x 1
		.amdhsa_system_sgpr_workgroup_id_y 0
		.amdhsa_system_sgpr_workgroup_id_z 0
		.amdhsa_system_sgpr_workgroup_info 0
		.amdhsa_system_vgpr_workitem_id 0
		.amdhsa_next_free_vgpr 17
		.amdhsa_next_free_sgpr 8
		.amdhsa_reserve_vcc 1
		.amdhsa_reserve_flat_scratch 0
		.amdhsa_float_round_mode_32 0
		.amdhsa_float_round_mode_16_64 0
		.amdhsa_float_denorm_mode_32 3
		.amdhsa_float_denorm_mode_16_64 3
		.amdhsa_dx10_clamp 1
		.amdhsa_ieee_mode 1
		.amdhsa_fp16_overflow 0
		.amdhsa_exception_fp_ieee_invalid_op 0
		.amdhsa_exception_fp_denorm_src 0
		.amdhsa_exception_fp_ieee_div_zero 0
		.amdhsa_exception_fp_ieee_overflow 0
		.amdhsa_exception_fp_ieee_underflow 0
		.amdhsa_exception_fp_ieee_inexact 0
		.amdhsa_exception_int_div_zero 0
	.end_amdhsa_kernel
	.section	.text._ZN7rocprim17ROCPRIM_304000_NS6detail45device_block_merge_mergepath_partition_kernelINS1_37wrapped_merge_sort_block_merge_configINS0_14default_configEiN2at4cuda3cub6detail10OpaqueTypeILi4EEEEEPijNS1_19radix_merge_compareILb1ELb1EiNS0_19identity_decomposerEEEEEvT0_T1_jPSH_T2_SH_,"axG",@progbits,_ZN7rocprim17ROCPRIM_304000_NS6detail45device_block_merge_mergepath_partition_kernelINS1_37wrapped_merge_sort_block_merge_configINS0_14default_configEiN2at4cuda3cub6detail10OpaqueTypeILi4EEEEEPijNS1_19radix_merge_compareILb1ELb1EiNS0_19identity_decomposerEEEEEvT0_T1_jPSH_T2_SH_,comdat
.Lfunc_end7:
	.size	_ZN7rocprim17ROCPRIM_304000_NS6detail45device_block_merge_mergepath_partition_kernelINS1_37wrapped_merge_sort_block_merge_configINS0_14default_configEiN2at4cuda3cub6detail10OpaqueTypeILi4EEEEEPijNS1_19radix_merge_compareILb1ELb1EiNS0_19identity_decomposerEEEEEvT0_T1_jPSH_T2_SH_, .Lfunc_end7-_ZN7rocprim17ROCPRIM_304000_NS6detail45device_block_merge_mergepath_partition_kernelINS1_37wrapped_merge_sort_block_merge_configINS0_14default_configEiN2at4cuda3cub6detail10OpaqueTypeILi4EEEEEPijNS1_19radix_merge_compareILb1ELb1EiNS0_19identity_decomposerEEEEEvT0_T1_jPSH_T2_SH_
                                        ; -- End function
	.set _ZN7rocprim17ROCPRIM_304000_NS6detail45device_block_merge_mergepath_partition_kernelINS1_37wrapped_merge_sort_block_merge_configINS0_14default_configEiN2at4cuda3cub6detail10OpaqueTypeILi4EEEEEPijNS1_19radix_merge_compareILb1ELb1EiNS0_19identity_decomposerEEEEEvT0_T1_jPSH_T2_SH_.num_vgpr, 17
	.set _ZN7rocprim17ROCPRIM_304000_NS6detail45device_block_merge_mergepath_partition_kernelINS1_37wrapped_merge_sort_block_merge_configINS0_14default_configEiN2at4cuda3cub6detail10OpaqueTypeILi4EEEEEPijNS1_19radix_merge_compareILb1ELb1EiNS0_19identity_decomposerEEEEEvT0_T1_jPSH_T2_SH_.num_agpr, 0
	.set _ZN7rocprim17ROCPRIM_304000_NS6detail45device_block_merge_mergepath_partition_kernelINS1_37wrapped_merge_sort_block_merge_configINS0_14default_configEiN2at4cuda3cub6detail10OpaqueTypeILi4EEEEEPijNS1_19radix_merge_compareILb1ELb1EiNS0_19identity_decomposerEEEEEvT0_T1_jPSH_T2_SH_.numbered_sgpr, 8
	.set _ZN7rocprim17ROCPRIM_304000_NS6detail45device_block_merge_mergepath_partition_kernelINS1_37wrapped_merge_sort_block_merge_configINS0_14default_configEiN2at4cuda3cub6detail10OpaqueTypeILi4EEEEEPijNS1_19radix_merge_compareILb1ELb1EiNS0_19identity_decomposerEEEEEvT0_T1_jPSH_T2_SH_.num_named_barrier, 0
	.set _ZN7rocprim17ROCPRIM_304000_NS6detail45device_block_merge_mergepath_partition_kernelINS1_37wrapped_merge_sort_block_merge_configINS0_14default_configEiN2at4cuda3cub6detail10OpaqueTypeILi4EEEEEPijNS1_19radix_merge_compareILb1ELb1EiNS0_19identity_decomposerEEEEEvT0_T1_jPSH_T2_SH_.private_seg_size, 0
	.set _ZN7rocprim17ROCPRIM_304000_NS6detail45device_block_merge_mergepath_partition_kernelINS1_37wrapped_merge_sort_block_merge_configINS0_14default_configEiN2at4cuda3cub6detail10OpaqueTypeILi4EEEEEPijNS1_19radix_merge_compareILb1ELb1EiNS0_19identity_decomposerEEEEEvT0_T1_jPSH_T2_SH_.uses_vcc, 1
	.set _ZN7rocprim17ROCPRIM_304000_NS6detail45device_block_merge_mergepath_partition_kernelINS1_37wrapped_merge_sort_block_merge_configINS0_14default_configEiN2at4cuda3cub6detail10OpaqueTypeILi4EEEEEPijNS1_19radix_merge_compareILb1ELb1EiNS0_19identity_decomposerEEEEEvT0_T1_jPSH_T2_SH_.uses_flat_scratch, 0
	.set _ZN7rocprim17ROCPRIM_304000_NS6detail45device_block_merge_mergepath_partition_kernelINS1_37wrapped_merge_sort_block_merge_configINS0_14default_configEiN2at4cuda3cub6detail10OpaqueTypeILi4EEEEEPijNS1_19radix_merge_compareILb1ELb1EiNS0_19identity_decomposerEEEEEvT0_T1_jPSH_T2_SH_.has_dyn_sized_stack, 0
	.set _ZN7rocprim17ROCPRIM_304000_NS6detail45device_block_merge_mergepath_partition_kernelINS1_37wrapped_merge_sort_block_merge_configINS0_14default_configEiN2at4cuda3cub6detail10OpaqueTypeILi4EEEEEPijNS1_19radix_merge_compareILb1ELb1EiNS0_19identity_decomposerEEEEEvT0_T1_jPSH_T2_SH_.has_recursion, 0
	.set _ZN7rocprim17ROCPRIM_304000_NS6detail45device_block_merge_mergepath_partition_kernelINS1_37wrapped_merge_sort_block_merge_configINS0_14default_configEiN2at4cuda3cub6detail10OpaqueTypeILi4EEEEEPijNS1_19radix_merge_compareILb1ELb1EiNS0_19identity_decomposerEEEEEvT0_T1_jPSH_T2_SH_.has_indirect_call, 0
	.section	.AMDGPU.csdata,"",@progbits
; Kernel info:
; codeLenInByte = 376
; TotalNumSgprs: 12
; NumVgprs: 17
; ScratchSize: 0
; MemoryBound: 0
; FloatMode: 240
; IeeeMode: 1
; LDSByteSize: 0 bytes/workgroup (compile time only)
; SGPRBlocks: 1
; VGPRBlocks: 4
; NumSGPRsForWavesPerEU: 12
; NumVGPRsForWavesPerEU: 17
; Occupancy: 10
; WaveLimiterHint : 0
; COMPUTE_PGM_RSRC2:SCRATCH_EN: 0
; COMPUTE_PGM_RSRC2:USER_SGPR: 6
; COMPUTE_PGM_RSRC2:TRAP_HANDLER: 0
; COMPUTE_PGM_RSRC2:TGID_X_EN: 1
; COMPUTE_PGM_RSRC2:TGID_Y_EN: 0
; COMPUTE_PGM_RSRC2:TGID_Z_EN: 0
; COMPUTE_PGM_RSRC2:TIDIG_COMP_CNT: 0
	.section	.text._ZN7rocprim17ROCPRIM_304000_NS6detail35device_block_merge_mergepath_kernelINS1_37wrapped_merge_sort_block_merge_configINS0_14default_configEiN2at4cuda3cub6detail10OpaqueTypeILi4EEEEEPiSC_PSA_SD_jNS1_19radix_merge_compareILb1ELb1EiNS0_19identity_decomposerEEEEEvT0_T1_T2_T3_T4_SL_jT5_PKSL_NS1_7vsmem_tE,"axG",@progbits,_ZN7rocprim17ROCPRIM_304000_NS6detail35device_block_merge_mergepath_kernelINS1_37wrapped_merge_sort_block_merge_configINS0_14default_configEiN2at4cuda3cub6detail10OpaqueTypeILi4EEEEEPiSC_PSA_SD_jNS1_19radix_merge_compareILb1ELb1EiNS0_19identity_decomposerEEEEEvT0_T1_T2_T3_T4_SL_jT5_PKSL_NS1_7vsmem_tE,comdat
	.protected	_ZN7rocprim17ROCPRIM_304000_NS6detail35device_block_merge_mergepath_kernelINS1_37wrapped_merge_sort_block_merge_configINS0_14default_configEiN2at4cuda3cub6detail10OpaqueTypeILi4EEEEEPiSC_PSA_SD_jNS1_19radix_merge_compareILb1ELb1EiNS0_19identity_decomposerEEEEEvT0_T1_T2_T3_T4_SL_jT5_PKSL_NS1_7vsmem_tE ; -- Begin function _ZN7rocprim17ROCPRIM_304000_NS6detail35device_block_merge_mergepath_kernelINS1_37wrapped_merge_sort_block_merge_configINS0_14default_configEiN2at4cuda3cub6detail10OpaqueTypeILi4EEEEEPiSC_PSA_SD_jNS1_19radix_merge_compareILb1ELb1EiNS0_19identity_decomposerEEEEEvT0_T1_T2_T3_T4_SL_jT5_PKSL_NS1_7vsmem_tE
	.globl	_ZN7rocprim17ROCPRIM_304000_NS6detail35device_block_merge_mergepath_kernelINS1_37wrapped_merge_sort_block_merge_configINS0_14default_configEiN2at4cuda3cub6detail10OpaqueTypeILi4EEEEEPiSC_PSA_SD_jNS1_19radix_merge_compareILb1ELb1EiNS0_19identity_decomposerEEEEEvT0_T1_T2_T3_T4_SL_jT5_PKSL_NS1_7vsmem_tE
	.p2align	8
	.type	_ZN7rocprim17ROCPRIM_304000_NS6detail35device_block_merge_mergepath_kernelINS1_37wrapped_merge_sort_block_merge_configINS0_14default_configEiN2at4cuda3cub6detail10OpaqueTypeILi4EEEEEPiSC_PSA_SD_jNS1_19radix_merge_compareILb1ELb1EiNS0_19identity_decomposerEEEEEvT0_T1_T2_T3_T4_SL_jT5_PKSL_NS1_7vsmem_tE,@function
_ZN7rocprim17ROCPRIM_304000_NS6detail35device_block_merge_mergepath_kernelINS1_37wrapped_merge_sort_block_merge_configINS0_14default_configEiN2at4cuda3cub6detail10OpaqueTypeILi4EEEEEPiSC_PSA_SD_jNS1_19radix_merge_compareILb1ELb1EiNS0_19identity_decomposerEEEEEvT0_T1_T2_T3_T4_SL_jT5_PKSL_NS1_7vsmem_tE: ; @_ZN7rocprim17ROCPRIM_304000_NS6detail35device_block_merge_mergepath_kernelINS1_37wrapped_merge_sort_block_merge_configINS0_14default_configEiN2at4cuda3cub6detail10OpaqueTypeILi4EEEEEPiSC_PSA_SD_jNS1_19radix_merge_compareILb1ELb1EiNS0_19identity_decomposerEEEEEvT0_T1_T2_T3_T4_SL_jT5_PKSL_NS1_7vsmem_tE
; %bb.0:
	s_load_dwordx2 s[10:11], s[4:5], 0x40
	s_load_dwordx4 s[20:23], s[4:5], 0x20
	s_add_u32 s2, s4, 64
	s_addc_u32 s3, s5, 0
	s_waitcnt lgkmcnt(0)
	s_mul_i32 s0, s11, s8
	s_add_i32 s0, s0, s7
	s_mul_i32 s0, s0, s10
	s_add_i32 s0, s0, s6
	s_cmp_ge_u32 s0, s22
	s_cbranch_scc1 .LBB8_103
; %bb.1:
	s_load_dwordx8 s[12:19], s[4:5], 0x0
	s_load_dwordx2 s[8:9], s[4:5], 0x30
	s_lshr_b32 s11, s20, 10
	s_cmp_lg_u32 s0, s11
	s_mov_b32 s1, 0
	s_cselect_b64 s[24:25], -1, 0
	s_lshl_b64 s[4:5], s[0:1], 2
	s_waitcnt lgkmcnt(0)
	s_add_u32 s4, s8, s4
	s_addc_u32 s5, s9, s5
	s_load_dwordx2 s[26:27], s[4:5], 0x0
	s_lshr_b32 s4, s21, 9
	s_and_b32 s4, s4, 0x7ffffe
	s_sub_i32 s4, 0, s4
	s_and_b32 s5, s0, s4
	s_lshl_b32 s7, s5, 10
	s_lshl_b32 s22, s0, 10
	;; [unrolled: 1-line block ×3, first 2 shown]
	s_sub_i32 s8, s22, s7
	s_add_i32 s5, s5, s21
	s_add_i32 s8, s5, s8
	s_waitcnt lgkmcnt(0)
	s_sub_i32 s9, s8, s26
	s_sub_i32 s8, s8, s27
	;; [unrolled: 1-line block ×3, first 2 shown]
	s_min_u32 s28, s20, s9
	s_addk_i32 s8, 0x400
	s_or_b32 s4, s0, s4
	s_min_u32 s7, s20, s5
	s_add_i32 s5, s5, s21
	s_cmp_eq_u32 s4, -1
	s_cselect_b32 s4, s5, s8
	s_cselect_b32 s5, s7, s27
	s_min_u32 s4, s4, s20
	s_mov_b32 s27, s1
	s_sub_i32 s33, s5, s26
	s_sub_i32 s38, s4, s28
	s_lshl_b64 s[30:31], s[26:27], 2
	s_add_u32 s5, s12, s30
	s_mov_b32 s29, s1
	s_addc_u32 s7, s13, s31
	s_lshl_b64 s[34:35], s[28:29], 2
	s_add_u32 s4, s12, s34
	v_mov_b32_e32 v10, 0
	global_load_dword v1, v10, s[2:3] offset:14
	s_addc_u32 s8, s13, s35
	s_cmp_lt_u32 s6, s10
	s_cselect_b32 s1, 12, 18
	s_add_u32 s2, s2, s1
	s_addc_u32 s3, s3, 0
	global_load_ushort v2, v10, s[2:3]
	s_cmp_eq_u32 s0, s11
	v_cmp_gt_u32_e32 vcc, s33, v0
	v_lshlrev_b32_e32 v13, 2, v0
	s_waitcnt vmcnt(1)
	v_lshrrev_b32_e32 v3, 16, v1
	v_and_b32_e32 v1, 0xffff, v1
	v_mul_lo_u32 v1, v1, v3
	s_waitcnt vmcnt(0)
	v_mul_lo_u32 v11, v1, v2
	v_add_u32_e32 v9, v11, v0
	s_cbranch_scc1 .LBB8_3
; %bb.2:
	v_mov_b32_e32 v1, s7
	v_add_co_u32_e64 v3, s[0:1], s5, v13
	v_subrev_u32_e32 v2, s33, v0
	v_addc_co_u32_e64 v1, s[0:1], 0, v1, s[0:1]
	v_lshlrev_b32_e32 v2, 2, v2
	v_mov_b32_e32 v4, s8
	v_add_co_u32_e64 v5, s[0:1], s4, v2
	v_addc_co_u32_e64 v2, s[0:1], 0, v4, s[0:1]
	v_cndmask_b32_e32 v2, v2, v1, vcc
	v_cndmask_b32_e32 v1, v5, v3, vcc
	global_load_dword v1, v[1:2], off
	v_lshlrev_b64 v[2:3], 2, v[9:10]
	v_mov_b32_e32 v4, s7
	v_add_co_u32_e32 v5, vcc, s5, v2
	v_addc_co_u32_e32 v4, vcc, v4, v3, vcc
	v_subrev_co_u32_e32 v2, vcc, s33, v9
	v_mov_b32_e32 v3, v10
	v_lshlrev_b64 v[2:3], 2, v[2:3]
	v_mov_b32_e32 v6, s8
	v_add_co_u32_e64 v2, s[0:1], s4, v2
	v_addc_co_u32_e64 v3, s[0:1], v6, v3, s[0:1]
	v_cndmask_b32_e32 v3, v3, v4, vcc
	v_cndmask_b32_e32 v2, v2, v5, vcc
	v_add_u32_e32 v4, v9, v11
	v_mov_b32_e32 v5, v10
	v_lshlrev_b64 v[5:6], 2, v[4:5]
	global_load_dword v2, v[2:3], off
	v_mov_b32_e32 v3, s7
	v_add_co_u32_e32 v7, vcc, s5, v5
	v_addc_co_u32_e32 v3, vcc, v3, v6, vcc
	v_subrev_co_u32_e32 v5, vcc, s33, v4
	v_mov_b32_e32 v6, v10
	v_lshlrev_b64 v[5:6], 2, v[5:6]
	v_mov_b32_e32 v8, s8
	v_add_co_u32_e64 v5, s[0:1], s4, v5
	v_addc_co_u32_e64 v6, s[0:1], v8, v6, s[0:1]
	v_cndmask_b32_e32 v6, v6, v3, vcc
	v_cndmask_b32_e32 v5, v5, v7, vcc
	global_load_dword v3, v[5:6], off
	v_add_u32_e32 v5, v4, v11
	v_mov_b32_e32 v6, v10
	v_lshlrev_b64 v[6:7], 2, v[5:6]
	v_mov_b32_e32 v4, s7
	v_add_co_u32_e32 v8, vcc, s5, v6
	v_addc_co_u32_e32 v4, vcc, v4, v7, vcc
	v_subrev_co_u32_e32 v6, vcc, s33, v5
	v_mov_b32_e32 v7, v10
	v_lshlrev_b64 v[6:7], 2, v[6:7]
	v_mov_b32_e32 v12, s8
	v_add_co_u32_e64 v6, s[0:1], s4, v6
	v_addc_co_u32_e64 v7, s[0:1], v12, v7, s[0:1]
	v_cndmask_b32_e32 v7, v7, v4, vcc
	v_cndmask_b32_e32 v6, v6, v8, vcc
	global_load_dword v4, v[6:7], off
	v_add_u32_e32 v6, v5, v11
	v_mov_b32_e32 v7, v10
	v_lshlrev_b64 v[7:8], 2, v[6:7]
	;; [unrolled: 15-line block ×4, first 2 shown]
	v_mov_b32_e32 v12, s7
	v_add_co_u32_e32 v15, vcc, s5, v7
	v_addc_co_u32_e32 v12, vcc, v12, v8, vcc
	v_subrev_co_u32_e32 v7, vcc, s33, v14
	v_mov_b32_e32 v8, v10
	v_lshlrev_b64 v[7:8], 2, v[7:8]
	v_mov_b32_e32 v16, s8
	v_add_co_u32_e64 v7, s[0:1], s4, v7
	v_cndmask_b32_e32 v7, v7, v15, vcc
	v_add_u32_e32 v14, v14, v11
	v_mov_b32_e32 v15, v10
	v_addc_co_u32_e64 v8, s[0:1], v16, v8, s[0:1]
	v_lshlrev_b64 v[15:16], 2, v[14:15]
	v_cndmask_b32_e32 v8, v8, v12, vcc
	global_load_dword v7, v[7:8], off
	v_mov_b32_e32 v8, s7
	v_add_co_u32_e32 v12, vcc, s5, v15
	v_addc_co_u32_e32 v8, vcc, v8, v16, vcc
	v_subrev_co_u32_e32 v14, vcc, s33, v14
	v_mov_b32_e32 v15, v10
	v_lshlrev_b64 v[14:15], 2, v[14:15]
	v_mov_b32_e32 v10, s8
	v_add_co_u32_e64 v14, s[0:1], s4, v14
	v_addc_co_u32_e64 v10, s[0:1], v10, v15, s[0:1]
	v_cndmask_b32_e32 v15, v10, v8, vcc
	v_cndmask_b32_e32 v14, v14, v12, vcc
	global_load_dword v8, v[14:15], off
	s_add_i32 s21, s38, s33
	s_cbranch_execz .LBB8_4
	s_branch .LBB8_21
.LBB8_3:
                                        ; implicit-def: $vgpr1_vgpr2_vgpr3_vgpr4_vgpr5_vgpr6_vgpr7_vgpr8
                                        ; implicit-def: $sgpr21
.LBB8_4:
	s_add_i32 s21, s38, s33
	s_waitcnt vmcnt(7)
	v_mov_b32_e32 v1, 0
	v_cmp_gt_u32_e32 vcc, s21, v0
	s_waitcnt vmcnt(6)
	v_mov_b32_e32 v2, v1
	s_waitcnt vmcnt(5)
	v_mov_b32_e32 v3, v1
	s_waitcnt vmcnt(4)
	v_mov_b32_e32 v4, v1
	s_waitcnt vmcnt(3)
	v_mov_b32_e32 v5, v1
	s_waitcnt vmcnt(2)
	v_mov_b32_e32 v6, v1
	s_waitcnt vmcnt(1)
	v_mov_b32_e32 v7, v1
	s_waitcnt vmcnt(0)
	v_mov_b32_e32 v8, v1
	s_and_saveexec_b64 s[0:1], vcc
	s_cbranch_execz .LBB8_6
; %bb.5:
	v_mov_b32_e32 v2, s7
	v_add_co_u32_e32 v4, vcc, s5, v13
	v_subrev_u32_e32 v3, s33, v0
	v_addc_co_u32_e32 v2, vcc, 0, v2, vcc
	v_lshlrev_b32_e32 v3, 2, v3
	v_mov_b32_e32 v5, s8
	v_add_co_u32_e32 v6, vcc, s4, v3
	v_addc_co_u32_e32 v3, vcc, 0, v5, vcc
	v_cmp_gt_u32_e32 vcc, s33, v0
	v_cndmask_b32_e32 v3, v3, v2, vcc
	v_cndmask_b32_e32 v2, v6, v4, vcc
	global_load_dword v14, v[2:3], off
	v_mov_b32_e32 v15, v1
	v_mov_b32_e32 v16, v1
	;; [unrolled: 1-line block ×7, first 2 shown]
	s_waitcnt vmcnt(0)
	v_mov_b32_e32 v1, v14
	v_mov_b32_e32 v2, v15
	;; [unrolled: 1-line block ×8, first 2 shown]
.LBB8_6:
	s_or_b64 exec, exec, s[0:1]
	v_cmp_gt_u32_e32 vcc, s21, v9
	s_and_saveexec_b64 s[2:3], vcc
	s_cbranch_execz .LBB8_8
; %bb.7:
	v_mov_b32_e32 v10, 0
	v_lshlrev_b64 v[14:15], 2, v[9:10]
	v_mov_b32_e32 v2, s7
	v_add_co_u32_e32 v12, vcc, s5, v14
	v_addc_co_u32_e32 v2, vcc, v2, v15, vcc
	v_subrev_co_u32_e32 v14, vcc, s33, v9
	v_mov_b32_e32 v15, v10
	v_lshlrev_b64 v[14:15], 2, v[14:15]
	v_mov_b32_e32 v10, s8
	v_add_co_u32_e64 v14, s[0:1], s4, v14
	v_addc_co_u32_e64 v10, s[0:1], v10, v15, s[0:1]
	v_cndmask_b32_e32 v15, v10, v2, vcc
	v_cndmask_b32_e32 v14, v14, v12, vcc
	global_load_dword v2, v[14:15], off
.LBB8_8:
	s_or_b64 exec, exec, s[2:3]
	v_add_u32_e32 v9, v9, v11
	v_cmp_gt_u32_e32 vcc, s21, v9
	s_and_saveexec_b64 s[2:3], vcc
	s_cbranch_execz .LBB8_10
; %bb.9:
	v_mov_b32_e32 v10, 0
	v_lshlrev_b64 v[14:15], 2, v[9:10]
	v_mov_b32_e32 v3, s7
	v_add_co_u32_e32 v12, vcc, s5, v14
	v_addc_co_u32_e32 v3, vcc, v3, v15, vcc
	v_subrev_co_u32_e32 v14, vcc, s33, v9
	v_mov_b32_e32 v15, v10
	v_lshlrev_b64 v[14:15], 2, v[14:15]
	v_mov_b32_e32 v10, s8
	v_add_co_u32_e64 v14, s[0:1], s4, v14
	v_addc_co_u32_e64 v10, s[0:1], v10, v15, s[0:1]
	v_cndmask_b32_e32 v15, v10, v3, vcc
	v_cndmask_b32_e32 v14, v14, v12, vcc
	global_load_dword v3, v[14:15], off
.LBB8_10:
	s_or_b64 exec, exec, s[2:3]
	v_add_u32_e32 v9, v9, v11
	;; [unrolled: 21-line block ×6, first 2 shown]
	v_cmp_gt_u32_e32 vcc, s21, v9
	s_and_saveexec_b64 s[2:3], vcc
	s_cbranch_execz .LBB8_20
; %bb.19:
	v_mov_b32_e32 v10, 0
	v_lshlrev_b64 v[11:12], 2, v[9:10]
	v_mov_b32_e32 v8, s7
	v_add_co_u32_e32 v11, vcc, s5, v11
	v_addc_co_u32_e32 v12, vcc, v8, v12, vcc
	v_subrev_co_u32_e32 v9, vcc, s33, v9
	v_lshlrev_b64 v[8:9], 2, v[9:10]
	v_mov_b32_e32 v10, s8
	v_add_co_u32_e64 v8, s[0:1], s4, v8
	v_addc_co_u32_e64 v9, s[0:1], v10, v9, s[0:1]
	v_cndmask_b32_e32 v9, v9, v12, vcc
	v_cndmask_b32_e32 v8, v8, v11, vcc
	global_load_dword v8, v[8:9], off
.LBB8_20:
	s_or_b64 exec, exec, s[2:3]
.LBB8_21:
	v_lshlrev_b32_e32 v14, 3, v0
	v_min_u32_e32 v10, s21, v14
	v_sub_u32_e64 v9, v10, s38 clamp
	v_min_u32_e32 v11, s33, v10
	v_cmp_lt_u32_e32 vcc, v9, v11
	s_waitcnt vmcnt(0)
	ds_write2st64_b32 v13, v1, v2 offset1:2
	ds_write2st64_b32 v13, v3, v4 offset0:4 offset1:6
	ds_write2st64_b32 v13, v5, v6 offset0:8 offset1:10
	ds_write2st64_b32 v13, v7, v8 offset0:12 offset1:14
	s_waitcnt lgkmcnt(0)
	s_barrier
	s_and_saveexec_b64 s[0:1], vcc
	s_cbranch_execz .LBB8_25
; %bb.22:
	v_lshlrev_b32_e32 v12, 2, v10
	v_lshl_add_u32 v12, s33, 2, v12
	s_mov_b64 s[2:3], 0
.LBB8_23:                               ; =>This Inner Loop Header: Depth=1
	v_add_u32_e32 v15, v11, v9
	v_lshrrev_b32_e32 v15, 1, v15
	v_not_b32_e32 v16, v15
	v_lshlrev_b32_e32 v17, 2, v15
	v_lshl_add_u32 v16, v16, 2, v12
	ds_read_b32 v17, v17
	ds_read_b32 v16, v16
	v_add_u32_e32 v18, 1, v15
	s_waitcnt lgkmcnt(1)
	v_and_b32_e32 v17, s23, v17
	s_waitcnt lgkmcnt(0)
	v_and_b32_e32 v16, s23, v16
	v_cmp_gt_i32_e32 vcc, v16, v17
	v_cndmask_b32_e32 v11, v11, v15, vcc
	v_cndmask_b32_e32 v9, v18, v9, vcc
	v_cmp_ge_u32_e32 vcc, v9, v11
	s_or_b64 s[2:3], vcc, s[2:3]
	s_andn2_b64 exec, exec, s[2:3]
	s_cbranch_execnz .LBB8_23
; %bb.24:
	s_or_b64 exec, exec, s[2:3]
.LBB8_25:
	s_or_b64 exec, exec, s[0:1]
	v_sub_u32_e32 v10, v10, v9
	v_add_u32_e32 v10, s33, v10
	v_cmp_ge_u32_e32 vcc, s33, v9
	v_cmp_ge_u32_e64 s[0:1], s21, v10
	s_or_b64 s[0:1], vcc, s[0:1]
	v_mov_b32_e32 v15, 0
	v_mov_b32_e32 v16, 0
	;; [unrolled: 1-line block ×8, first 2 shown]
	s_and_saveexec_b64 s[36:37], s[0:1]
	s_cbranch_execz .LBB8_31
; %bb.26:
	v_cmp_gt_u32_e32 vcc, s33, v9
                                        ; implicit-def: $vgpr1
	s_and_saveexec_b64 s[0:1], vcc
; %bb.27:
	v_lshlrev_b32_e32 v1, 2, v9
	ds_read_b32 v1, v1
; %bb.28:
	s_or_b64 exec, exec, s[0:1]
	v_cmp_le_u32_e64 s[0:1], s21, v10
	v_cmp_gt_u32_e64 s[2:3], s21, v10
                                        ; implicit-def: $vgpr2
	s_and_saveexec_b64 s[4:5], s[2:3]
; %bb.29:
	v_lshlrev_b32_e32 v2, 2, v10
	ds_read_b32 v2, v2
; %bb.30:
	s_or_b64 exec, exec, s[4:5]
	s_waitcnt lgkmcnt(0)
	v_and_b32_e32 v3, s23, v2
	v_and_b32_e32 v4, s23, v1
	v_cmp_le_i32_e64 s[2:3], v3, v4
	s_and_b64 s[2:3], vcc, s[2:3]
	s_or_b64 vcc, s[0:1], s[2:3]
	v_mov_b32_e32 v4, s21
	v_mov_b32_e32 v5, s33
	v_cndmask_b32_e32 v22, v10, v9, vcc
	v_cndmask_b32_e32 v3, v4, v5, vcc
	v_add_u32_e32 v6, 1, v22
	v_add_u32_e32 v3, -1, v3
	v_min_u32_e32 v3, v6, v3
	v_lshlrev_b32_e32 v3, 2, v3
	ds_read_b32 v3, v3
	v_cndmask_b32_e32 v8, v6, v10, vcc
	v_cndmask_b32_e32 v6, v9, v6, vcc
	v_cmp_gt_u32_e64 s[2:3], s33, v6
	v_cmp_le_u32_e64 s[0:1], s21, v8
	s_waitcnt lgkmcnt(0)
	v_cndmask_b32_e32 v7, v3, v2, vcc
	v_cndmask_b32_e32 v3, v1, v3, vcc
	v_and_b32_e32 v9, s23, v7
	v_and_b32_e32 v10, s23, v3
	v_cmp_le_i32_e64 s[4:5], v9, v10
	s_and_b64 s[2:3], s[2:3], s[4:5]
	s_or_b64 s[0:1], s[0:1], s[2:3]
	v_cndmask_b32_e64 v21, v8, v6, s[0:1]
	v_cndmask_b32_e64 v9, v4, v5, s[0:1]
	v_add_u32_e32 v10, 1, v21
	v_add_u32_e32 v9, -1, v9
	v_min_u32_e32 v9, v10, v9
	v_lshlrev_b32_e32 v9, 2, v9
	ds_read_b32 v9, v9
	v_cndmask_b32_e64 v8, v10, v8, s[0:1]
	v_cndmask_b32_e64 v6, v6, v10, s[0:1]
	v_cmp_gt_u32_e64 s[4:5], s33, v6
	v_cmp_le_u32_e64 s[2:3], s21, v8
	s_waitcnt lgkmcnt(0)
	v_cndmask_b32_e64 v11, v9, v7, s[0:1]
	v_cndmask_b32_e64 v9, v3, v9, s[0:1]
	v_and_b32_e32 v10, s23, v11
	v_and_b32_e32 v12, s23, v9
	v_cmp_le_i32_e64 s[6:7], v10, v12
	s_and_b64 s[4:5], s[4:5], s[6:7]
	s_or_b64 s[2:3], s[2:3], s[4:5]
	v_cndmask_b32_e64 v20, v8, v6, s[2:3]
	v_cndmask_b32_e64 v10, v4, v5, s[2:3]
	v_add_u32_e32 v12, 1, v20
	v_add_u32_e32 v10, -1, v10
	v_min_u32_e32 v10, v12, v10
	v_lshlrev_b32_e32 v10, 2, v10
	ds_read_b32 v10, v10
	v_cndmask_b32_e64 v8, v12, v8, s[2:3]
	v_cndmask_b32_e64 v6, v6, v12, s[2:3]
	v_cmp_gt_u32_e64 s[6:7], s33, v6
	v_cmp_le_u32_e64 s[4:5], s21, v8
	s_waitcnt lgkmcnt(0)
	v_cndmask_b32_e64 v15, v10, v11, s[2:3]
	v_cndmask_b32_e64 v10, v9, v10, s[2:3]
	;; [unrolled: 19-line block ×4, first 2 shown]
	v_and_b32_e32 v16, s23, v24
	v_and_b32_e32 v17, s23, v25
	v_cmp_le_i32_e64 s[12:13], v16, v17
	s_and_b64 s[10:11], s[10:11], s[12:13]
	s_or_b64 s[8:9], s[8:9], s[10:11]
	v_cndmask_b32_e64 v17, v8, v6, s[8:9]
	v_cndmask_b32_e64 v16, v4, v5, s[8:9]
	v_add_u32_e32 v26, 1, v17
	v_add_u32_e32 v16, -1, v16
	v_min_u32_e32 v16, v26, v16
	v_lshlrev_b32_e32 v16, 2, v16
	ds_read_b32 v16, v16
	v_cndmask_b32_e32 v1, v2, v1, vcc
	v_cndmask_b32_e64 v2, v7, v3, s[0:1]
	v_cndmask_b32_e64 v3, v11, v9, s[2:3]
	;; [unrolled: 1-line block ×3, first 2 shown]
	s_waitcnt lgkmcnt(0)
	v_cndmask_b32_e64 v9, v16, v24, s[8:9]
	v_cndmask_b32_e64 v11, v25, v16, s[8:9]
	;; [unrolled: 1-line block ×3, first 2 shown]
	v_and_b32_e32 v6, s23, v9
	v_and_b32_e32 v7, s23, v11
	v_cmp_gt_u32_e64 s[0:1], s33, v26
	v_cmp_le_i32_e64 s[2:3], v6, v7
	v_cmp_le_u32_e32 vcc, s21, v8
	s_and_b64 s[0:1], s[0:1], s[2:3]
	s_or_b64 vcc, vcc, s[0:1]
	v_cndmask_b32_e32 v16, v8, v26, vcc
	v_cndmask_b32_e32 v4, v4, v5, vcc
	v_add_u32_e32 v27, 1, v16
	v_add_u32_e32 v4, -1, v4
	v_min_u32_e32 v4, v27, v4
	v_lshlrev_b32_e32 v4, 2, v4
	ds_read_b32 v28, v4
	v_cndmask_b32_e64 v4, v15, v10, s[4:5]
	v_cndmask_b32_e32 v7, v9, v11, vcc
	v_cndmask_b32_e64 v5, v23, v12, s[6:7]
	v_cndmask_b32_e32 v8, v27, v8, vcc
	s_waitcnt lgkmcnt(0)
	v_cndmask_b32_e32 v9, v28, v9, vcc
	v_cndmask_b32_e32 v10, v11, v28, vcc
	v_cndmask_b32_e32 v11, v26, v27, vcc
	v_and_b32_e32 v12, s23, v9
	v_and_b32_e32 v15, s23, v10
	v_cmp_gt_u32_e64 s[0:1], s33, v11
	v_cmp_le_i32_e64 s[2:3], v12, v15
	v_cmp_le_u32_e32 vcc, s21, v8
	s_and_b64 s[0:1], s[0:1], s[2:3]
	s_or_b64 vcc, vcc, s[0:1]
	v_cndmask_b32_e64 v6, v24, v25, s[8:9]
	v_cndmask_b32_e32 v15, v8, v11, vcc
	v_cndmask_b32_e32 v8, v9, v10, vcc
.LBB8_31:
	s_or_b64 exec, exec, s[36:37]
	s_add_u32 s8, s16, s30
	s_addc_u32 s9, s17, s31
	s_add_u32 s6, s16, s34
	v_cndmask_b32_e64 v9, 0, 1, s[24:25]
	s_addc_u32 s7, s17, s35
	v_cmp_gt_u32_e64 s[4:5], s33, v0
	v_cmp_ne_u32_e64 s[0:1], 1, v9
	s_andn2_b64 vcc, exec, s[24:25]
	v_cmp_le_u32_e64 s[2:3], s33, v0
	s_barrier
	s_cbranch_vccnz .LBB8_33
; %bb.32:
	v_subrev_u32_e32 v9, s33, v0
	v_lshlrev_b32_e32 v9, 2, v9
	v_mov_b32_e32 v10, s7
	v_add_co_u32_e32 v9, vcc, s6, v9
	v_addc_co_u32_e32 v10, vcc, 0, v10, vcc
	v_mov_b32_e32 v11, s9
	v_add_co_u32_e32 v12, vcc, s8, v13
	v_addc_co_u32_e32 v11, vcc, 0, v11, vcc
	v_cndmask_b32_e64 v10, v10, v11, s[4:5]
	v_cndmask_b32_e64 v9, v9, v12, s[4:5]
	global_load_dword v11, v[9:10], off
	v_or_b32_e32 v9, 0x80, v0
	v_subrev_u32_e32 v10, s33, v9
	v_min_u32_e32 v10, v9, v10
	v_cmp_gt_u32_e32 vcc, s33, v9
	v_mov_b32_e32 v25, s6
	v_mov_b32_e32 v26, s8
	;; [unrolled: 1-line block ×4, first 2 shown]
	v_cndmask_b32_e32 v9, v25, v26, vcc
	v_lshlrev_b32_e32 v10, 2, v10
	v_cndmask_b32_e32 v23, v12, v24, vcc
	v_add_co_u32_e32 v9, vcc, v9, v10
	v_addc_co_u32_e32 v10, vcc, 0, v23, vcc
	global_load_dword v23, v[9:10], off
	v_or_b32_e32 v9, 0x100, v0
	v_subrev_u32_e32 v10, s33, v9
	v_min_u32_e32 v10, v9, v10
	v_cmp_gt_u32_e32 vcc, s33, v9
	v_cndmask_b32_e32 v9, v25, v26, vcc
	v_lshlrev_b32_e32 v10, 2, v10
	v_cndmask_b32_e32 v27, v12, v24, vcc
	v_add_co_u32_e32 v9, vcc, v9, v10
	v_addc_co_u32_e32 v10, vcc, 0, v27, vcc
	global_load_dword v27, v[9:10], off
	v_or_b32_e32 v9, 0x180, v0
	v_subrev_u32_e32 v10, s33, v9
	v_min_u32_e32 v10, v9, v10
	v_cmp_gt_u32_e32 vcc, s33, v9
	;; [unrolled: 10-line block ×5, first 2 shown]
	v_cndmask_b32_e32 v9, v25, v26, vcc
	v_lshlrev_b32_e32 v10, 2, v10
	v_cndmask_b32_e32 v31, v12, v24, vcc
	v_add_co_u32_e32 v9, vcc, v9, v10
	v_addc_co_u32_e32 v10, vcc, 0, v31, vcc
	global_load_dword v9, v[9:10], off
	s_mov_b64 s[4:5], -1
	s_waitcnt vmcnt(5)
	ds_write2st64_b32 v13, v11, v23 offset1:2
	s_waitcnt vmcnt(3)
	ds_write2st64_b32 v13, v27, v28 offset0:4 offset1:6
	s_waitcnt vmcnt(1)
	ds_write2st64_b32 v13, v29, v30 offset0:8 offset1:10
	s_waitcnt vmcnt(0)
	ds_write_b32 v13, v9 offset:3072
	v_or_b32_e32 v23, 0x380, v0
	v_subrev_u32_e32 v9, s33, v23
	v_cmp_gt_u32_e32 vcc, s33, v23
	v_min_u32_e32 v11, v23, v9
	v_cndmask_b32_e32 v10, v12, v24, vcc
	v_cndmask_b32_e32 v9, v25, v26, vcc
	s_cbranch_execz .LBB8_34
	s_branch .LBB8_65
.LBB8_33:
	s_mov_b64 s[4:5], 0
                                        ; implicit-def: $vgpr23
                                        ; implicit-def: $vgpr9_vgpr10
                                        ; implicit-def: $vgpr11
.LBB8_34:
	s_mov_b64 s[4:5], 0
                                        ; implicit-def: $vgpr9_vgpr10
	s_and_saveexec_b64 s[10:11], s[2:3]
	s_xor_b64 s[2:3], exec, s[10:11]
	s_cbranch_execnz .LBB8_104
; %bb.35:
	s_andn2_saveexec_b64 s[2:3], s[2:3]
	s_cbranch_execnz .LBB8_107
.LBB8_36:
	s_or_b64 exec, exec, s[2:3]
	s_and_saveexec_b64 s[2:3], s[4:5]
	s_cbranch_execz .LBB8_38
.LBB8_37:
	global_load_dword v9, v[9:10], off
	s_waitcnt vmcnt(0)
	ds_write_b32 v13, v9
.LBB8_38:
	s_or_b64 exec, exec, s[2:3]
	v_or_b32_e32 v11, 0x80, v0
	v_mov_b32_e32 v9, s26
	v_cmp_le_u32_e32 vcc, s33, v11
	s_mov_b64 s[2:3], -1
	v_mov_b32_e32 v10, s27
	s_and_saveexec_b64 s[4:5], vcc
; %bb.39:
	v_subrev_u32_e32 v11, s33, v11
	v_cmp_gt_u32_e32 vcc, s38, v11
	v_mov_b32_e32 v9, s28
	v_mov_b32_e32 v10, s29
	s_orn2_b64 s[2:3], vcc, exec
; %bb.40:
	s_or_b64 exec, exec, s[4:5]
	s_and_saveexec_b64 s[4:5], s[2:3]
	s_cbranch_execz .LBB8_42
; %bb.41:
	v_lshlrev_b64 v[9:10], 2, v[9:10]
	v_mov_b32_e32 v12, s17
	v_add_co_u32_e32 v9, vcc, s16, v9
	v_addc_co_u32_e32 v10, vcc, v12, v10, vcc
	v_lshlrev_b32_e32 v11, 2, v11
	v_add_co_u32_e32 v9, vcc, v9, v11
	v_addc_co_u32_e32 v10, vcc, 0, v10, vcc
	global_load_dword v9, v[9:10], off
	s_waitcnt vmcnt(0)
	ds_write_b32 v13, v9 offset:512
.LBB8_42:
	s_or_b64 exec, exec, s[4:5]
	v_or_b32_e32 v11, 0x100, v0
	v_mov_b32_e32 v9, s26
	v_cmp_le_u32_e32 vcc, s33, v11
	s_mov_b64 s[2:3], -1
	v_mov_b32_e32 v10, s27
	s_and_saveexec_b64 s[4:5], vcc
; %bb.43:
	v_subrev_u32_e32 v11, s33, v11
	v_cmp_gt_u32_e32 vcc, s38, v11
	v_mov_b32_e32 v9, s28
	v_mov_b32_e32 v10, s29
	s_orn2_b64 s[2:3], vcc, exec
; %bb.44:
	s_or_b64 exec, exec, s[4:5]
	s_and_saveexec_b64 s[4:5], s[2:3]
	s_cbranch_execz .LBB8_46
; %bb.45:
	v_lshlrev_b64 v[9:10], 2, v[9:10]
	v_mov_b32_e32 v12, s17
	v_add_co_u32_e32 v9, vcc, s16, v9
	v_addc_co_u32_e32 v10, vcc, v12, v10, vcc
	v_lshlrev_b32_e32 v11, 2, v11
	v_add_co_u32_e32 v9, vcc, v9, v11
	v_addc_co_u32_e32 v10, vcc, 0, v10, vcc
	global_load_dword v9, v[9:10], off
	s_waitcnt vmcnt(0)
	ds_write_b32 v13, v9 offset:1024
.LBB8_46:
	;; [unrolled: 29-line block ×6, first 2 shown]
	s_or_b64 exec, exec, s[4:5]
	v_or_b32_e32 v23, 0x380, v0
	v_mov_b32_e32 v10, s9
	v_cmp_le_u32_e32 vcc, s33, v23
	s_mov_b64 s[4:5], -1
	v_mov_b32_e32 v9, s8
	v_mov_b32_e32 v11, v23
	s_and_saveexec_b64 s[2:3], vcc
; %bb.63:
	v_subrev_u32_e32 v11, s33, v23
	v_cmp_gt_u32_e32 vcc, s38, v11
	v_mov_b32_e32 v10, s7
	v_mov_b32_e32 v9, s6
	s_orn2_b64 s[4:5], vcc, exec
; %bb.64:
	s_or_b64 exec, exec, s[2:3]
.LBB8_65:
	s_and_saveexec_b64 s[2:3], s[4:5]
	s_cbranch_execz .LBB8_67
; %bb.66:
	v_mov_b32_e32 v12, 0
	v_lshlrev_b64 v[11:12], 2, v[11:12]
	v_add_co_u32_e32 v9, vcc, v9, v11
	v_addc_co_u32_e32 v10, vcc, v10, v12, vcc
	global_load_dword v9, v[9:10], off
	v_lshlrev_b32_e32 v10, 2, v23
	s_waitcnt vmcnt(0)
	ds_write_b32 v10, v9
.LBB8_67:
	s_or_b64 exec, exec, s[2:3]
	s_and_b64 vcc, exec, s[0:1]
	v_add_u32_e32 v9, s22, v14
	s_waitcnt lgkmcnt(0)
	s_barrier
	s_cbranch_vccnz .LBB8_69
; %bb.68:
	v_lshlrev_b32_e32 v23, 2, v22
	v_lshlrev_b32_e32 v24, 2, v21
	;; [unrolled: 1-line block ×7, first 2 shown]
	v_mov_b32_e32 v10, 0
	ds_read_b32 v23, v23
	ds_read_b32 v24, v24
	;; [unrolled: 1-line block ×7, first 2 shown]
	v_lshlrev_b64 v[11:12], 2, v[9:10]
	v_mov_b32_e32 v30, s19
	v_add_co_u32_e32 v11, vcc, s18, v11
	v_addc_co_u32_e32 v12, vcc, v30, v12, vcc
	s_mov_b64 s[0:1], -1
	s_waitcnt lgkmcnt(3)
	global_store_dwordx4 v[11:12], v[23:26], off
	s_waitcnt lgkmcnt(0)
	global_store_dwordx3 v[11:12], v[27:29], off offset:16
	s_cbranch_execz .LBB8_70
	s_branch .LBB8_87
.LBB8_69:
	s_mov_b64 s[0:1], 0
.LBB8_70:
	v_cmp_gt_u32_e32 vcc, s21, v14
	s_and_saveexec_b64 s[2:3], vcc
	s_cbranch_execz .LBB8_72
; %bb.71:
	v_lshlrev_b32_e32 v12, 2, v22
	v_mov_b32_e32 v10, 0
	ds_read_b32 v12, v12
	v_lshlrev_b64 v[10:11], 2, v[9:10]
	v_mov_b32_e32 v22, s19
	v_add_co_u32_e32 v10, vcc, s18, v10
	v_addc_co_u32_e32 v11, vcc, v22, v11, vcc
	s_waitcnt lgkmcnt(0)
	global_store_dword v[10:11], v12, off
.LBB8_72:
	s_or_b64 exec, exec, s[2:3]
	v_or_b32_e32 v10, 1, v14
	v_cmp_gt_u32_e32 vcc, s21, v10
	s_and_saveexec_b64 s[2:3], vcc
	s_cbranch_execz .LBB8_74
; %bb.73:
	v_lshlrev_b32_e32 v12, 2, v21
	v_mov_b32_e32 v10, 0
	ds_read_b32 v12, v12
	v_lshlrev_b64 v[10:11], 2, v[9:10]
	v_mov_b32_e32 v21, s19
	v_add_co_u32_e32 v10, vcc, s18, v10
	v_addc_co_u32_e32 v11, vcc, v21, v11, vcc
	s_waitcnt lgkmcnt(0)
	global_store_dword v[10:11], v12, off offset:4
.LBB8_74:
	s_or_b64 exec, exec, s[2:3]
	v_or_b32_e32 v10, 2, v14
	v_cmp_gt_u32_e32 vcc, s21, v10
	s_and_saveexec_b64 s[2:3], vcc
	s_cbranch_execz .LBB8_76
; %bb.75:
	v_lshlrev_b32_e32 v12, 2, v20
	v_mov_b32_e32 v10, 0
	ds_read_b32 v12, v12
	v_lshlrev_b64 v[10:11], 2, v[9:10]
	v_mov_b32_e32 v20, s19
	v_add_co_u32_e32 v10, vcc, s18, v10
	v_addc_co_u32_e32 v11, vcc, v20, v11, vcc
	s_waitcnt lgkmcnt(0)
	global_store_dword v[10:11], v12, off offset:8
.LBB8_76:
	;; [unrolled: 16-line block ×6, first 2 shown]
	s_or_b64 exec, exec, s[2:3]
	v_or_b32_e32 v10, 7, v14
	v_cmp_gt_u32_e32 vcc, s21, v10
	s_and_saveexec_b64 s[2:3], vcc
; %bb.85:
	v_mov_b32_e32 v10, 0
	s_or_b64 s[0:1], s[0:1], exec
; %bb.86:
	s_or_b64 exec, exec, s[2:3]
.LBB8_87:
	s_and_saveexec_b64 s[2:3], s[0:1]
	s_cbranch_execz .LBB8_89
; %bb.88:
	v_lshlrev_b32_e32 v11, 2, v15
	ds_read_b32 v11, v11
	v_lshlrev_b64 v[9:10], 2, v[9:10]
	v_mov_b32_e32 v12, s19
	v_add_co_u32_e32 v9, vcc, s18, v9
	v_addc_co_u32_e32 v10, vcc, v12, v10, vcc
	s_waitcnt lgkmcnt(0)
	global_store_dword v[9:10], v11, off offset:28
.LBB8_89:
	s_or_b64 exec, exec, s[2:3]
	v_and_b32_e32 v9, 0x7c, v0
	v_lshl_add_u32 v9, v14, 2, v9
	s_waitcnt vmcnt(0)
	s_barrier
	s_barrier
	ds_write2_b32 v9, v1, v2 offset1:1
	ds_write2_b32 v9, v3, v4 offset0:2 offset1:3
	ds_write2_b32 v9, v5, v6 offset0:4 offset1:5
	;; [unrolled: 1-line block ×3, first 2 shown]
	v_lshrrev_b32_e32 v1, 3, v0
	v_and_b32_e32 v1, 12, v1
	v_or_b32_e32 v10, 0x80, v0
	v_add_u32_e32 v11, v1, v13
	v_lshrrev_b32_e32 v1, 3, v10
	v_and_b32_e32 v1, 28, v1
	v_or_b32_e32 v9, 0x100, v0
	v_add_u32_e32 v12, v1, v13
	;; [unrolled: 4-line block ×5, first 2 shown]
	v_lshrrev_b32_e32 v1, 3, v5
	v_and_b32_e32 v1, 0x5c, v1
	v_or_b32_e32 v4, 0x300, v0
	s_mov_b32 s23, 0
	v_add_u32_e32 v17, v1, v13
	v_lshrrev_b32_e32 v1, 3, v4
	s_lshl_b64 s[0:1], s[22:23], 2
	v_and_b32_e32 v1, 0x6c, v1
	v_or_b32_e32 v3, 0x380, v0
	s_add_u32 s0, s14, s0
	v_add_u32_e32 v18, v1, v13
	v_lshrrev_b32_e32 v1, 3, v3
	s_addc_u32 s1, s15, s1
	v_and_b32_e32 v1, 0x7c, v1
	v_add_u32_e32 v19, v1, v13
	v_mov_b32_e32 v2, s1
	v_add_co_u32_e32 v1, vcc, s0, v13
	v_addc_co_u32_e32 v2, vcc, 0, v2, vcc
	s_and_b64 vcc, exec, s[24:25]
	s_waitcnt lgkmcnt(0)
	s_cbranch_vccz .LBB8_91
; %bb.90:
	s_barrier
	ds_read_b32 v13, v11
	ds_read_b32 v20, v12 offset:512
	ds_read_b32 v21, v14 offset:1024
	;; [unrolled: 1-line block ×7, first 2 shown]
	s_waitcnt lgkmcnt(7)
	global_store_dword v[1:2], v13, off
	s_waitcnt lgkmcnt(6)
	global_store_dword v[1:2], v20, off offset:512
	s_waitcnt lgkmcnt(5)
	global_store_dword v[1:2], v21, off offset:1024
	;; [unrolled: 2-line block ×6, first 2 shown]
	s_mov_b64 s[0:1], -1
	s_cbranch_execz .LBB8_92
	s_branch .LBB8_101
.LBB8_91:
	s_mov_b64 s[0:1], 0
                                        ; implicit-def: $vgpr7
.LBB8_92:
	s_waitcnt vmcnt(0) lgkmcnt(0)
	s_barrier
	ds_read_b32 v21, v12 offset:512
	ds_read_b32 v20, v14 offset:1024
	;; [unrolled: 1-line block ×7, first 2 shown]
	s_sub_i32 s2, s20, s22
	v_cmp_gt_u32_e32 vcc, s2, v0
	s_and_saveexec_b64 s[0:1], vcc
	s_cbranch_execnz .LBB8_108
; %bb.93:
	s_or_b64 exec, exec, s[0:1]
	v_cmp_gt_u32_e32 vcc, s2, v10
	s_and_saveexec_b64 s[0:1], vcc
	s_cbranch_execnz .LBB8_109
.LBB8_94:
	s_or_b64 exec, exec, s[0:1]
	v_cmp_gt_u32_e32 vcc, s2, v9
	s_and_saveexec_b64 s[0:1], vcc
	s_cbranch_execnz .LBB8_110
.LBB8_95:
	s_or_b64 exec, exec, s[0:1]
	v_cmp_gt_u32_e32 vcc, s2, v8
	s_and_saveexec_b64 s[0:1], vcc
	s_cbranch_execnz .LBB8_111
.LBB8_96:
	s_or_b64 exec, exec, s[0:1]
	v_cmp_gt_u32_e32 vcc, s2, v6
	s_and_saveexec_b64 s[0:1], vcc
	s_cbranch_execnz .LBB8_112
.LBB8_97:
	s_or_b64 exec, exec, s[0:1]
	v_cmp_gt_u32_e32 vcc, s2, v5
	s_and_saveexec_b64 s[0:1], vcc
	s_cbranch_execnz .LBB8_113
.LBB8_98:
	s_or_b64 exec, exec, s[0:1]
	v_cmp_gt_u32_e32 vcc, s2, v4
	s_and_saveexec_b64 s[0:1], vcc
	s_cbranch_execz .LBB8_100
.LBB8_99:
	s_waitcnt lgkmcnt(1)
	global_store_dword v[1:2], v12, off offset:3072
.LBB8_100:
	s_or_b64 exec, exec, s[0:1]
	v_cmp_gt_u32_e64 s[0:1], s2, v3
.LBB8_101:
	s_and_saveexec_b64 s[2:3], s[0:1]
	s_cbranch_execz .LBB8_103
; %bb.102:
	s_waitcnt lgkmcnt(0)
	global_store_dword v[1:2], v7, off offset:3584
.LBB8_103:
	s_endpgm
.LBB8_104:
	v_subrev_u32_e32 v11, s33, v0
	v_cmp_gt_u32_e32 vcc, s38, v11
                                        ; implicit-def: $vgpr9_vgpr10
	s_and_saveexec_b64 s[10:11], vcc
	s_xor_b64 s[10:11], exec, s[10:11]
; %bb.105:
	v_lshlrev_b32_e32 v9, 2, v11
	v_mov_b32_e32 v10, s7
	v_add_co_u32_e32 v9, vcc, s6, v9
	s_mov_b64 s[4:5], exec
	v_addc_co_u32_e32 v10, vcc, 0, v10, vcc
; %bb.106:
	s_or_b64 exec, exec, s[10:11]
	s_and_b64 s[4:5], s[4:5], exec
	s_andn2_saveexec_b64 s[2:3], s[2:3]
	s_cbranch_execz .LBB8_36
.LBB8_107:
	v_mov_b32_e32 v10, s9
	v_add_co_u32_e32 v9, vcc, s8, v13
	v_addc_co_u32_e32 v10, vcc, 0, v10, vcc
	s_or_b64 s[4:5], s[4:5], exec
	s_or_b64 exec, exec, s[2:3]
	s_and_saveexec_b64 s[2:3], s[4:5]
	s_cbranch_execnz .LBB8_37
	s_branch .LBB8_38
.LBB8_108:
	ds_read_b32 v0, v11
	s_waitcnt lgkmcnt(0)
	global_store_dword v[1:2], v0, off
	s_or_b64 exec, exec, s[0:1]
	v_cmp_gt_u32_e32 vcc, s2, v10
	s_and_saveexec_b64 s[0:1], vcc
	s_cbranch_execz .LBB8_94
.LBB8_109:
	s_waitcnt lgkmcnt(6)
	global_store_dword v[1:2], v21, off offset:512
	s_or_b64 exec, exec, s[0:1]
	v_cmp_gt_u32_e32 vcc, s2, v9
	s_and_saveexec_b64 s[0:1], vcc
	s_cbranch_execz .LBB8_95
.LBB8_110:
	s_waitcnt lgkmcnt(5)
	global_store_dword v[1:2], v20, off offset:1024
	s_or_b64 exec, exec, s[0:1]
	v_cmp_gt_u32_e32 vcc, s2, v8
	s_and_saveexec_b64 s[0:1], vcc
	s_cbranch_execz .LBB8_96
.LBB8_111:
	s_waitcnt lgkmcnt(4)
	global_store_dword v[1:2], v15, off offset:1536
	s_or_b64 exec, exec, s[0:1]
	v_cmp_gt_u32_e32 vcc, s2, v6
	s_and_saveexec_b64 s[0:1], vcc
	s_cbranch_execz .LBB8_97
.LBB8_112:
	s_waitcnt lgkmcnt(3)
	global_store_dword v[1:2], v14, off offset:2048
	s_or_b64 exec, exec, s[0:1]
	v_cmp_gt_u32_e32 vcc, s2, v5
	s_and_saveexec_b64 s[0:1], vcc
	s_cbranch_execz .LBB8_98
.LBB8_113:
	s_waitcnt lgkmcnt(2)
	global_store_dword v[1:2], v13, off offset:2560
	s_or_b64 exec, exec, s[0:1]
	v_cmp_gt_u32_e32 vcc, s2, v4
	s_and_saveexec_b64 s[0:1], vcc
	s_cbranch_execnz .LBB8_99
	s_branch .LBB8_100
	.section	.rodata,"a",@progbits
	.p2align	6, 0x0
	.amdhsa_kernel _ZN7rocprim17ROCPRIM_304000_NS6detail35device_block_merge_mergepath_kernelINS1_37wrapped_merge_sort_block_merge_configINS0_14default_configEiN2at4cuda3cub6detail10OpaqueTypeILi4EEEEEPiSC_PSA_SD_jNS1_19radix_merge_compareILb1ELb1EiNS0_19identity_decomposerEEEEEvT0_T1_T2_T3_T4_SL_jT5_PKSL_NS1_7vsmem_tE
		.amdhsa_group_segment_fixed_size 4224
		.amdhsa_private_segment_fixed_size 0
		.amdhsa_kernarg_size 320
		.amdhsa_user_sgpr_count 6
		.amdhsa_user_sgpr_private_segment_buffer 1
		.amdhsa_user_sgpr_dispatch_ptr 0
		.amdhsa_user_sgpr_queue_ptr 0
		.amdhsa_user_sgpr_kernarg_segment_ptr 1
		.amdhsa_user_sgpr_dispatch_id 0
		.amdhsa_user_sgpr_flat_scratch_init 0
		.amdhsa_user_sgpr_private_segment_size 0
		.amdhsa_uses_dynamic_stack 0
		.amdhsa_system_sgpr_private_segment_wavefront_offset 0
		.amdhsa_system_sgpr_workgroup_id_x 1
		.amdhsa_system_sgpr_workgroup_id_y 1
		.amdhsa_system_sgpr_workgroup_id_z 1
		.amdhsa_system_sgpr_workgroup_info 0
		.amdhsa_system_vgpr_workitem_id 0
		.amdhsa_next_free_vgpr 32
		.amdhsa_next_free_sgpr 61
		.amdhsa_reserve_vcc 1
		.amdhsa_reserve_flat_scratch 0
		.amdhsa_float_round_mode_32 0
		.amdhsa_float_round_mode_16_64 0
		.amdhsa_float_denorm_mode_32 3
		.amdhsa_float_denorm_mode_16_64 3
		.amdhsa_dx10_clamp 1
		.amdhsa_ieee_mode 1
		.amdhsa_fp16_overflow 0
		.amdhsa_exception_fp_ieee_invalid_op 0
		.amdhsa_exception_fp_denorm_src 0
		.amdhsa_exception_fp_ieee_div_zero 0
		.amdhsa_exception_fp_ieee_overflow 0
		.amdhsa_exception_fp_ieee_underflow 0
		.amdhsa_exception_fp_ieee_inexact 0
		.amdhsa_exception_int_div_zero 0
	.end_amdhsa_kernel
	.section	.text._ZN7rocprim17ROCPRIM_304000_NS6detail35device_block_merge_mergepath_kernelINS1_37wrapped_merge_sort_block_merge_configINS0_14default_configEiN2at4cuda3cub6detail10OpaqueTypeILi4EEEEEPiSC_PSA_SD_jNS1_19radix_merge_compareILb1ELb1EiNS0_19identity_decomposerEEEEEvT0_T1_T2_T3_T4_SL_jT5_PKSL_NS1_7vsmem_tE,"axG",@progbits,_ZN7rocprim17ROCPRIM_304000_NS6detail35device_block_merge_mergepath_kernelINS1_37wrapped_merge_sort_block_merge_configINS0_14default_configEiN2at4cuda3cub6detail10OpaqueTypeILi4EEEEEPiSC_PSA_SD_jNS1_19radix_merge_compareILb1ELb1EiNS0_19identity_decomposerEEEEEvT0_T1_T2_T3_T4_SL_jT5_PKSL_NS1_7vsmem_tE,comdat
.Lfunc_end8:
	.size	_ZN7rocprim17ROCPRIM_304000_NS6detail35device_block_merge_mergepath_kernelINS1_37wrapped_merge_sort_block_merge_configINS0_14default_configEiN2at4cuda3cub6detail10OpaqueTypeILi4EEEEEPiSC_PSA_SD_jNS1_19radix_merge_compareILb1ELb1EiNS0_19identity_decomposerEEEEEvT0_T1_T2_T3_T4_SL_jT5_PKSL_NS1_7vsmem_tE, .Lfunc_end8-_ZN7rocprim17ROCPRIM_304000_NS6detail35device_block_merge_mergepath_kernelINS1_37wrapped_merge_sort_block_merge_configINS0_14default_configEiN2at4cuda3cub6detail10OpaqueTypeILi4EEEEEPiSC_PSA_SD_jNS1_19radix_merge_compareILb1ELb1EiNS0_19identity_decomposerEEEEEvT0_T1_T2_T3_T4_SL_jT5_PKSL_NS1_7vsmem_tE
                                        ; -- End function
	.set _ZN7rocprim17ROCPRIM_304000_NS6detail35device_block_merge_mergepath_kernelINS1_37wrapped_merge_sort_block_merge_configINS0_14default_configEiN2at4cuda3cub6detail10OpaqueTypeILi4EEEEEPiSC_PSA_SD_jNS1_19radix_merge_compareILb1ELb1EiNS0_19identity_decomposerEEEEEvT0_T1_T2_T3_T4_SL_jT5_PKSL_NS1_7vsmem_tE.num_vgpr, 32
	.set _ZN7rocprim17ROCPRIM_304000_NS6detail35device_block_merge_mergepath_kernelINS1_37wrapped_merge_sort_block_merge_configINS0_14default_configEiN2at4cuda3cub6detail10OpaqueTypeILi4EEEEEPiSC_PSA_SD_jNS1_19radix_merge_compareILb1ELb1EiNS0_19identity_decomposerEEEEEvT0_T1_T2_T3_T4_SL_jT5_PKSL_NS1_7vsmem_tE.num_agpr, 0
	.set _ZN7rocprim17ROCPRIM_304000_NS6detail35device_block_merge_mergepath_kernelINS1_37wrapped_merge_sort_block_merge_configINS0_14default_configEiN2at4cuda3cub6detail10OpaqueTypeILi4EEEEEPiSC_PSA_SD_jNS1_19radix_merge_compareILb1ELb1EiNS0_19identity_decomposerEEEEEvT0_T1_T2_T3_T4_SL_jT5_PKSL_NS1_7vsmem_tE.numbered_sgpr, 39
	.set _ZN7rocprim17ROCPRIM_304000_NS6detail35device_block_merge_mergepath_kernelINS1_37wrapped_merge_sort_block_merge_configINS0_14default_configEiN2at4cuda3cub6detail10OpaqueTypeILi4EEEEEPiSC_PSA_SD_jNS1_19radix_merge_compareILb1ELb1EiNS0_19identity_decomposerEEEEEvT0_T1_T2_T3_T4_SL_jT5_PKSL_NS1_7vsmem_tE.num_named_barrier, 0
	.set _ZN7rocprim17ROCPRIM_304000_NS6detail35device_block_merge_mergepath_kernelINS1_37wrapped_merge_sort_block_merge_configINS0_14default_configEiN2at4cuda3cub6detail10OpaqueTypeILi4EEEEEPiSC_PSA_SD_jNS1_19radix_merge_compareILb1ELb1EiNS0_19identity_decomposerEEEEEvT0_T1_T2_T3_T4_SL_jT5_PKSL_NS1_7vsmem_tE.private_seg_size, 0
	.set _ZN7rocprim17ROCPRIM_304000_NS6detail35device_block_merge_mergepath_kernelINS1_37wrapped_merge_sort_block_merge_configINS0_14default_configEiN2at4cuda3cub6detail10OpaqueTypeILi4EEEEEPiSC_PSA_SD_jNS1_19radix_merge_compareILb1ELb1EiNS0_19identity_decomposerEEEEEvT0_T1_T2_T3_T4_SL_jT5_PKSL_NS1_7vsmem_tE.uses_vcc, 1
	.set _ZN7rocprim17ROCPRIM_304000_NS6detail35device_block_merge_mergepath_kernelINS1_37wrapped_merge_sort_block_merge_configINS0_14default_configEiN2at4cuda3cub6detail10OpaqueTypeILi4EEEEEPiSC_PSA_SD_jNS1_19radix_merge_compareILb1ELb1EiNS0_19identity_decomposerEEEEEvT0_T1_T2_T3_T4_SL_jT5_PKSL_NS1_7vsmem_tE.uses_flat_scratch, 0
	.set _ZN7rocprim17ROCPRIM_304000_NS6detail35device_block_merge_mergepath_kernelINS1_37wrapped_merge_sort_block_merge_configINS0_14default_configEiN2at4cuda3cub6detail10OpaqueTypeILi4EEEEEPiSC_PSA_SD_jNS1_19radix_merge_compareILb1ELb1EiNS0_19identity_decomposerEEEEEvT0_T1_T2_T3_T4_SL_jT5_PKSL_NS1_7vsmem_tE.has_dyn_sized_stack, 0
	.set _ZN7rocprim17ROCPRIM_304000_NS6detail35device_block_merge_mergepath_kernelINS1_37wrapped_merge_sort_block_merge_configINS0_14default_configEiN2at4cuda3cub6detail10OpaqueTypeILi4EEEEEPiSC_PSA_SD_jNS1_19radix_merge_compareILb1ELb1EiNS0_19identity_decomposerEEEEEvT0_T1_T2_T3_T4_SL_jT5_PKSL_NS1_7vsmem_tE.has_recursion, 0
	.set _ZN7rocprim17ROCPRIM_304000_NS6detail35device_block_merge_mergepath_kernelINS1_37wrapped_merge_sort_block_merge_configINS0_14default_configEiN2at4cuda3cub6detail10OpaqueTypeILi4EEEEEPiSC_PSA_SD_jNS1_19radix_merge_compareILb1ELb1EiNS0_19identity_decomposerEEEEEvT0_T1_T2_T3_T4_SL_jT5_PKSL_NS1_7vsmem_tE.has_indirect_call, 0
	.section	.AMDGPU.csdata,"",@progbits
; Kernel info:
; codeLenInByte = 6016
; TotalNumSgprs: 43
; NumVgprs: 32
; ScratchSize: 0
; MemoryBound: 0
; FloatMode: 240
; IeeeMode: 1
; LDSByteSize: 4224 bytes/workgroup (compile time only)
; SGPRBlocks: 8
; VGPRBlocks: 7
; NumSGPRsForWavesPerEU: 65
; NumVGPRsForWavesPerEU: 32
; Occupancy: 8
; WaveLimiterHint : 1
; COMPUTE_PGM_RSRC2:SCRATCH_EN: 0
; COMPUTE_PGM_RSRC2:USER_SGPR: 6
; COMPUTE_PGM_RSRC2:TRAP_HANDLER: 0
; COMPUTE_PGM_RSRC2:TGID_X_EN: 1
; COMPUTE_PGM_RSRC2:TGID_Y_EN: 1
; COMPUTE_PGM_RSRC2:TGID_Z_EN: 1
; COMPUTE_PGM_RSRC2:TIDIG_COMP_CNT: 0
	.section	.text._ZN7rocprim17ROCPRIM_304000_NS6detail33device_block_merge_oddeven_kernelINS1_37wrapped_merge_sort_block_merge_configINS0_14default_configEiN2at4cuda3cub6detail10OpaqueTypeILi4EEEEEPiSC_PSA_SD_jNS1_19radix_merge_compareILb1ELb1EiNS0_19identity_decomposerEEEEEvT0_T1_T2_T3_T4_SL_T5_,"axG",@progbits,_ZN7rocprim17ROCPRIM_304000_NS6detail33device_block_merge_oddeven_kernelINS1_37wrapped_merge_sort_block_merge_configINS0_14default_configEiN2at4cuda3cub6detail10OpaqueTypeILi4EEEEEPiSC_PSA_SD_jNS1_19radix_merge_compareILb1ELb1EiNS0_19identity_decomposerEEEEEvT0_T1_T2_T3_T4_SL_T5_,comdat
	.protected	_ZN7rocprim17ROCPRIM_304000_NS6detail33device_block_merge_oddeven_kernelINS1_37wrapped_merge_sort_block_merge_configINS0_14default_configEiN2at4cuda3cub6detail10OpaqueTypeILi4EEEEEPiSC_PSA_SD_jNS1_19radix_merge_compareILb1ELb1EiNS0_19identity_decomposerEEEEEvT0_T1_T2_T3_T4_SL_T5_ ; -- Begin function _ZN7rocprim17ROCPRIM_304000_NS6detail33device_block_merge_oddeven_kernelINS1_37wrapped_merge_sort_block_merge_configINS0_14default_configEiN2at4cuda3cub6detail10OpaqueTypeILi4EEEEEPiSC_PSA_SD_jNS1_19radix_merge_compareILb1ELb1EiNS0_19identity_decomposerEEEEEvT0_T1_T2_T3_T4_SL_T5_
	.globl	_ZN7rocprim17ROCPRIM_304000_NS6detail33device_block_merge_oddeven_kernelINS1_37wrapped_merge_sort_block_merge_configINS0_14default_configEiN2at4cuda3cub6detail10OpaqueTypeILi4EEEEEPiSC_PSA_SD_jNS1_19radix_merge_compareILb1ELb1EiNS0_19identity_decomposerEEEEEvT0_T1_T2_T3_T4_SL_T5_
	.p2align	8
	.type	_ZN7rocprim17ROCPRIM_304000_NS6detail33device_block_merge_oddeven_kernelINS1_37wrapped_merge_sort_block_merge_configINS0_14default_configEiN2at4cuda3cub6detail10OpaqueTypeILi4EEEEEPiSC_PSA_SD_jNS1_19radix_merge_compareILb1ELb1EiNS0_19identity_decomposerEEEEEvT0_T1_T2_T3_T4_SL_T5_,@function
_ZN7rocprim17ROCPRIM_304000_NS6detail33device_block_merge_oddeven_kernelINS1_37wrapped_merge_sort_block_merge_configINS0_14default_configEiN2at4cuda3cub6detail10OpaqueTypeILi4EEEEEPiSC_PSA_SD_jNS1_19radix_merge_compareILb1ELb1EiNS0_19identity_decomposerEEEEEvT0_T1_T2_T3_T4_SL_T5_: ; @_ZN7rocprim17ROCPRIM_304000_NS6detail33device_block_merge_oddeven_kernelINS1_37wrapped_merge_sort_block_merge_configINS0_14default_configEiN2at4cuda3cub6detail10OpaqueTypeILi4EEEEEPiSC_PSA_SD_jNS1_19radix_merge_compareILb1ELb1EiNS0_19identity_decomposerEEEEEvT0_T1_T2_T3_T4_SL_T5_
; %bb.0:
	s_load_dwordx4 s[16:19], s[4:5], 0x20
	s_waitcnt lgkmcnt(0)
	s_lshr_b32 s0, s16, 8
	s_cmp_eq_u32 s6, s0
	s_cselect_b64 s[20:21], -1, 0
	s_cmp_lg_u32 s6, s0
	s_cselect_b64 s[0:1], -1, 0
	s_lshl_b32 s22, s6, 8
	s_sub_i32 s2, s16, s22
	v_cmp_gt_u32_e64 s[2:3], s2, v0
	s_or_b64 s[0:1], s[0:1], s[2:3]
	s_and_saveexec_b64 s[8:9], s[0:1]
	s_cbranch_execz .LBB9_24
; %bb.1:
	s_load_dwordx8 s[8:15], s[4:5], 0x0
	s_mov_b32 s23, 0
	s_lshl_b64 s[0:1], s[22:23], 2
	v_lshlrev_b32_e32 v1, 2, v0
	v_add_u32_e32 v0, s22, v0
	s_waitcnt lgkmcnt(0)
	s_add_u32 s4, s8, s0
	s_addc_u32 s5, s9, s1
	s_add_u32 s0, s12, s0
	s_addc_u32 s1, s13, s1
	global_load_dword v2, v1, s[0:1]
	global_load_dword v3, v1, s[4:5]
	s_lshr_b32 s0, s17, 8
	s_sub_i32 s1, 0, s0
	s_and_b32 s1, s6, s1
	s_and_b32 s0, s1, s0
	s_lshl_b32 s13, s1, 8
	s_sub_i32 s6, 0, s17
	s_cmp_eq_u32 s0, 0
	s_cselect_b64 s[0:1], -1, 0
	s_and_b64 s[4:5], s[0:1], exec
	s_cselect_b32 s6, s17, s6
	s_add_i32 s6, s6, s13
	s_mov_b64 s[4:5], -1
	s_cmp_gt_u32 s16, s6
	s_cbranch_scc1 .LBB9_9
; %bb.2:
	s_and_b64 vcc, exec, s[20:21]
	s_cbranch_vccz .LBB9_6
; %bb.3:
	v_cmp_gt_u32_e32 vcc, s16, v0
	s_and_saveexec_b64 s[4:5], vcc
	s_cbranch_execz .LBB9_5
; %bb.4:
	v_mov_b32_e32 v1, 0
	v_lshlrev_b64 v[4:5], 2, v[0:1]
	v_mov_b32_e32 v1, s15
	v_add_co_u32_e32 v6, vcc, s14, v4
	v_addc_co_u32_e32 v7, vcc, v1, v5, vcc
	v_mov_b32_e32 v1, s11
	v_add_co_u32_e32 v4, vcc, s10, v4
	v_addc_co_u32_e32 v5, vcc, v1, v5, vcc
	s_waitcnt vmcnt(0)
	global_store_dword v[4:5], v3, off
	global_store_dword v[6:7], v2, off
.LBB9_5:
	s_or_b64 exec, exec, s[4:5]
	s_mov_b64 s[4:5], 0
.LBB9_6:
	s_andn2_b64 vcc, exec, s[4:5]
	s_cbranch_vccnz .LBB9_8
; %bb.7:
	v_mov_b32_e32 v1, 0
	v_lshlrev_b64 v[4:5], 2, v[0:1]
	v_mov_b32_e32 v1, s11
	v_add_co_u32_e32 v6, vcc, s10, v4
	v_addc_co_u32_e32 v7, vcc, v1, v5, vcc
	v_mov_b32_e32 v1, s15
	v_add_co_u32_e32 v4, vcc, s14, v4
	v_addc_co_u32_e32 v5, vcc, v1, v5, vcc
	s_waitcnt vmcnt(0)
	global_store_dword v[6:7], v3, off
	global_store_dword v[4:5], v2, off
.LBB9_8:
	s_mov_b64 s[4:5], 0
.LBB9_9:
	s_andn2_b64 vcc, exec, s[4:5]
	s_cbranch_vccnz .LBB9_24
; %bb.10:
	s_min_u32 s7, s6, s16
	s_add_i32 s4, s7, s17
	s_min_u32 s12, s4, s16
	s_min_u32 s4, s13, s7
	s_add_i32 s13, s13, s7
	v_subrev_u32_e32 v0, s13, v0
	v_add_u32_e32 v4, s4, v0
	s_waitcnt vmcnt(0)
	v_and_b32_e32 v5, s18, v3
	s_mov_b64 s[4:5], -1
	s_and_b64 vcc, exec, s[20:21]
	s_cbranch_vccz .LBB9_18
; %bb.11:
	s_and_saveexec_b64 s[4:5], s[2:3]
	s_cbranch_execz .LBB9_17
; %bb.12:
	s_cmp_ge_u32 s6, s12
	v_mov_b32_e32 v6, s7
	s_cbranch_scc1 .LBB9_16
; %bb.13:
	s_mov_b64 s[2:3], 0
	v_mov_b32_e32 v7, s12
	v_mov_b32_e32 v6, s7
	;; [unrolled: 1-line block ×4, first 2 shown]
.LBB9_14:                               ; =>This Inner Loop Header: Depth=1
	v_add_u32_e32 v0, v6, v7
	v_lshrrev_b32_e32 v0, 1, v0
	v_lshlrev_b64 v[9:10], 2, v[0:1]
	v_add_co_u32_e32 v9, vcc, s8, v9
	v_addc_co_u32_e32 v10, vcc, v8, v10, vcc
	global_load_dword v9, v[9:10], off
	v_add_u32_e32 v10, 1, v0
	s_waitcnt vmcnt(0)
	v_and_b32_e32 v9, s18, v9
	v_cmp_gt_i32_e32 vcc, v9, v5
	v_cndmask_b32_e64 v11, 0, 1, vcc
	v_cmp_le_i32_e32 vcc, v5, v9
	v_cndmask_b32_e64 v9, 0, 1, vcc
	v_cndmask_b32_e64 v9, v9, v11, s[0:1]
	v_and_b32_e32 v9, 1, v9
	v_cmp_eq_u32_e32 vcc, 1, v9
	v_cndmask_b32_e32 v7, v0, v7, vcc
	v_cndmask_b32_e32 v6, v6, v10, vcc
	v_cmp_ge_u32_e32 vcc, v6, v7
	s_or_b64 s[2:3], vcc, s[2:3]
	s_andn2_b64 exec, exec, s[2:3]
	s_cbranch_execnz .LBB9_14
; %bb.15:
	s_or_b64 exec, exec, s[2:3]
.LBB9_16:
	v_add_u32_e32 v0, v6, v4
	v_mov_b32_e32 v1, 0
	v_lshlrev_b64 v[0:1], 2, v[0:1]
	v_mov_b32_e32 v7, s11
	v_add_co_u32_e32 v6, vcc, s10, v0
	v_addc_co_u32_e32 v7, vcc, v7, v1, vcc
	global_store_dword v[6:7], v3, off
	v_mov_b32_e32 v6, s15
	v_add_co_u32_e32 v0, vcc, s14, v0
	v_addc_co_u32_e32 v1, vcc, v6, v1, vcc
	global_store_dword v[0:1], v2, off
.LBB9_17:
	s_or_b64 exec, exec, s[4:5]
	s_mov_b64 s[4:5], 0
.LBB9_18:
	s_andn2_b64 vcc, exec, s[4:5]
	s_cbranch_vccnz .LBB9_24
; %bb.19:
	s_cmp_ge_u32 s6, s12
	v_mov_b32_e32 v6, s7
	s_cbranch_scc1 .LBB9_23
; %bb.20:
	s_mov_b64 s[2:3], 0
	v_mov_b32_e32 v7, s12
	v_mov_b32_e32 v6, s7
	;; [unrolled: 1-line block ×4, first 2 shown]
.LBB9_21:                               ; =>This Inner Loop Header: Depth=1
	v_add_u32_e32 v0, v6, v7
	v_lshrrev_b32_e32 v0, 1, v0
	v_lshlrev_b64 v[9:10], 2, v[0:1]
	v_add_co_u32_e32 v9, vcc, s8, v9
	v_addc_co_u32_e32 v10, vcc, v8, v10, vcc
	global_load_dword v9, v[9:10], off
	v_add_u32_e32 v10, 1, v0
	s_waitcnt vmcnt(0)
	v_and_b32_e32 v9, s18, v9
	v_cmp_gt_i32_e32 vcc, v9, v5
	v_cndmask_b32_e64 v11, 0, 1, vcc
	v_cmp_le_i32_e32 vcc, v5, v9
	v_cndmask_b32_e64 v9, 0, 1, vcc
	v_cndmask_b32_e64 v9, v9, v11, s[0:1]
	v_and_b32_e32 v9, 1, v9
	v_cmp_eq_u32_e32 vcc, 1, v9
	v_cndmask_b32_e32 v7, v0, v7, vcc
	v_cndmask_b32_e32 v6, v6, v10, vcc
	v_cmp_ge_u32_e32 vcc, v6, v7
	s_or_b64 s[2:3], vcc, s[2:3]
	s_andn2_b64 exec, exec, s[2:3]
	s_cbranch_execnz .LBB9_21
; %bb.22:
	s_or_b64 exec, exec, s[2:3]
.LBB9_23:
	v_add_u32_e32 v0, v6, v4
	v_mov_b32_e32 v1, 0
	v_lshlrev_b64 v[0:1], 2, v[0:1]
	v_mov_b32_e32 v5, s11
	v_add_co_u32_e32 v4, vcc, s10, v0
	v_addc_co_u32_e32 v5, vcc, v5, v1, vcc
	global_store_dword v[4:5], v3, off
	v_mov_b32_e32 v3, s15
	v_add_co_u32_e32 v0, vcc, s14, v0
	v_addc_co_u32_e32 v1, vcc, v3, v1, vcc
	global_store_dword v[0:1], v2, off
.LBB9_24:
	s_endpgm
	.section	.rodata,"a",@progbits
	.p2align	6, 0x0
	.amdhsa_kernel _ZN7rocprim17ROCPRIM_304000_NS6detail33device_block_merge_oddeven_kernelINS1_37wrapped_merge_sort_block_merge_configINS0_14default_configEiN2at4cuda3cub6detail10OpaqueTypeILi4EEEEEPiSC_PSA_SD_jNS1_19radix_merge_compareILb1ELb1EiNS0_19identity_decomposerEEEEEvT0_T1_T2_T3_T4_SL_T5_
		.amdhsa_group_segment_fixed_size 0
		.amdhsa_private_segment_fixed_size 0
		.amdhsa_kernarg_size 44
		.amdhsa_user_sgpr_count 6
		.amdhsa_user_sgpr_private_segment_buffer 1
		.amdhsa_user_sgpr_dispatch_ptr 0
		.amdhsa_user_sgpr_queue_ptr 0
		.amdhsa_user_sgpr_kernarg_segment_ptr 1
		.amdhsa_user_sgpr_dispatch_id 0
		.amdhsa_user_sgpr_flat_scratch_init 0
		.amdhsa_user_sgpr_private_segment_size 0
		.amdhsa_uses_dynamic_stack 0
		.amdhsa_system_sgpr_private_segment_wavefront_offset 0
		.amdhsa_system_sgpr_workgroup_id_x 1
		.amdhsa_system_sgpr_workgroup_id_y 0
		.amdhsa_system_sgpr_workgroup_id_z 0
		.amdhsa_system_sgpr_workgroup_info 0
		.amdhsa_system_vgpr_workitem_id 0
		.amdhsa_next_free_vgpr 12
		.amdhsa_next_free_sgpr 24
		.amdhsa_reserve_vcc 1
		.amdhsa_reserve_flat_scratch 0
		.amdhsa_float_round_mode_32 0
		.amdhsa_float_round_mode_16_64 0
		.amdhsa_float_denorm_mode_32 3
		.amdhsa_float_denorm_mode_16_64 3
		.amdhsa_dx10_clamp 1
		.amdhsa_ieee_mode 1
		.amdhsa_fp16_overflow 0
		.amdhsa_exception_fp_ieee_invalid_op 0
		.amdhsa_exception_fp_denorm_src 0
		.amdhsa_exception_fp_ieee_div_zero 0
		.amdhsa_exception_fp_ieee_overflow 0
		.amdhsa_exception_fp_ieee_underflow 0
		.amdhsa_exception_fp_ieee_inexact 0
		.amdhsa_exception_int_div_zero 0
	.end_amdhsa_kernel
	.section	.text._ZN7rocprim17ROCPRIM_304000_NS6detail33device_block_merge_oddeven_kernelINS1_37wrapped_merge_sort_block_merge_configINS0_14default_configEiN2at4cuda3cub6detail10OpaqueTypeILi4EEEEEPiSC_PSA_SD_jNS1_19radix_merge_compareILb1ELb1EiNS0_19identity_decomposerEEEEEvT0_T1_T2_T3_T4_SL_T5_,"axG",@progbits,_ZN7rocprim17ROCPRIM_304000_NS6detail33device_block_merge_oddeven_kernelINS1_37wrapped_merge_sort_block_merge_configINS0_14default_configEiN2at4cuda3cub6detail10OpaqueTypeILi4EEEEEPiSC_PSA_SD_jNS1_19radix_merge_compareILb1ELb1EiNS0_19identity_decomposerEEEEEvT0_T1_T2_T3_T4_SL_T5_,comdat
.Lfunc_end9:
	.size	_ZN7rocprim17ROCPRIM_304000_NS6detail33device_block_merge_oddeven_kernelINS1_37wrapped_merge_sort_block_merge_configINS0_14default_configEiN2at4cuda3cub6detail10OpaqueTypeILi4EEEEEPiSC_PSA_SD_jNS1_19radix_merge_compareILb1ELb1EiNS0_19identity_decomposerEEEEEvT0_T1_T2_T3_T4_SL_T5_, .Lfunc_end9-_ZN7rocprim17ROCPRIM_304000_NS6detail33device_block_merge_oddeven_kernelINS1_37wrapped_merge_sort_block_merge_configINS0_14default_configEiN2at4cuda3cub6detail10OpaqueTypeILi4EEEEEPiSC_PSA_SD_jNS1_19radix_merge_compareILb1ELb1EiNS0_19identity_decomposerEEEEEvT0_T1_T2_T3_T4_SL_T5_
                                        ; -- End function
	.set _ZN7rocprim17ROCPRIM_304000_NS6detail33device_block_merge_oddeven_kernelINS1_37wrapped_merge_sort_block_merge_configINS0_14default_configEiN2at4cuda3cub6detail10OpaqueTypeILi4EEEEEPiSC_PSA_SD_jNS1_19radix_merge_compareILb1ELb1EiNS0_19identity_decomposerEEEEEvT0_T1_T2_T3_T4_SL_T5_.num_vgpr, 12
	.set _ZN7rocprim17ROCPRIM_304000_NS6detail33device_block_merge_oddeven_kernelINS1_37wrapped_merge_sort_block_merge_configINS0_14default_configEiN2at4cuda3cub6detail10OpaqueTypeILi4EEEEEPiSC_PSA_SD_jNS1_19radix_merge_compareILb1ELb1EiNS0_19identity_decomposerEEEEEvT0_T1_T2_T3_T4_SL_T5_.num_agpr, 0
	.set _ZN7rocprim17ROCPRIM_304000_NS6detail33device_block_merge_oddeven_kernelINS1_37wrapped_merge_sort_block_merge_configINS0_14default_configEiN2at4cuda3cub6detail10OpaqueTypeILi4EEEEEPiSC_PSA_SD_jNS1_19radix_merge_compareILb1ELb1EiNS0_19identity_decomposerEEEEEvT0_T1_T2_T3_T4_SL_T5_.numbered_sgpr, 24
	.set _ZN7rocprim17ROCPRIM_304000_NS6detail33device_block_merge_oddeven_kernelINS1_37wrapped_merge_sort_block_merge_configINS0_14default_configEiN2at4cuda3cub6detail10OpaqueTypeILi4EEEEEPiSC_PSA_SD_jNS1_19radix_merge_compareILb1ELb1EiNS0_19identity_decomposerEEEEEvT0_T1_T2_T3_T4_SL_T5_.num_named_barrier, 0
	.set _ZN7rocprim17ROCPRIM_304000_NS6detail33device_block_merge_oddeven_kernelINS1_37wrapped_merge_sort_block_merge_configINS0_14default_configEiN2at4cuda3cub6detail10OpaqueTypeILi4EEEEEPiSC_PSA_SD_jNS1_19radix_merge_compareILb1ELb1EiNS0_19identity_decomposerEEEEEvT0_T1_T2_T3_T4_SL_T5_.private_seg_size, 0
	.set _ZN7rocprim17ROCPRIM_304000_NS6detail33device_block_merge_oddeven_kernelINS1_37wrapped_merge_sort_block_merge_configINS0_14default_configEiN2at4cuda3cub6detail10OpaqueTypeILi4EEEEEPiSC_PSA_SD_jNS1_19radix_merge_compareILb1ELb1EiNS0_19identity_decomposerEEEEEvT0_T1_T2_T3_T4_SL_T5_.uses_vcc, 1
	.set _ZN7rocprim17ROCPRIM_304000_NS6detail33device_block_merge_oddeven_kernelINS1_37wrapped_merge_sort_block_merge_configINS0_14default_configEiN2at4cuda3cub6detail10OpaqueTypeILi4EEEEEPiSC_PSA_SD_jNS1_19radix_merge_compareILb1ELb1EiNS0_19identity_decomposerEEEEEvT0_T1_T2_T3_T4_SL_T5_.uses_flat_scratch, 0
	.set _ZN7rocprim17ROCPRIM_304000_NS6detail33device_block_merge_oddeven_kernelINS1_37wrapped_merge_sort_block_merge_configINS0_14default_configEiN2at4cuda3cub6detail10OpaqueTypeILi4EEEEEPiSC_PSA_SD_jNS1_19radix_merge_compareILb1ELb1EiNS0_19identity_decomposerEEEEEvT0_T1_T2_T3_T4_SL_T5_.has_dyn_sized_stack, 0
	.set _ZN7rocprim17ROCPRIM_304000_NS6detail33device_block_merge_oddeven_kernelINS1_37wrapped_merge_sort_block_merge_configINS0_14default_configEiN2at4cuda3cub6detail10OpaqueTypeILi4EEEEEPiSC_PSA_SD_jNS1_19radix_merge_compareILb1ELb1EiNS0_19identity_decomposerEEEEEvT0_T1_T2_T3_T4_SL_T5_.has_recursion, 0
	.set _ZN7rocprim17ROCPRIM_304000_NS6detail33device_block_merge_oddeven_kernelINS1_37wrapped_merge_sort_block_merge_configINS0_14default_configEiN2at4cuda3cub6detail10OpaqueTypeILi4EEEEEPiSC_PSA_SD_jNS1_19radix_merge_compareILb1ELb1EiNS0_19identity_decomposerEEEEEvT0_T1_T2_T3_T4_SL_T5_.has_indirect_call, 0
	.section	.AMDGPU.csdata,"",@progbits
; Kernel info:
; codeLenInByte = 812
; TotalNumSgprs: 28
; NumVgprs: 12
; ScratchSize: 0
; MemoryBound: 0
; FloatMode: 240
; IeeeMode: 1
; LDSByteSize: 0 bytes/workgroup (compile time only)
; SGPRBlocks: 3
; VGPRBlocks: 2
; NumSGPRsForWavesPerEU: 28
; NumVGPRsForWavesPerEU: 12
; Occupancy: 10
; WaveLimiterHint : 0
; COMPUTE_PGM_RSRC2:SCRATCH_EN: 0
; COMPUTE_PGM_RSRC2:USER_SGPR: 6
; COMPUTE_PGM_RSRC2:TRAP_HANDLER: 0
; COMPUTE_PGM_RSRC2:TGID_X_EN: 1
; COMPUTE_PGM_RSRC2:TGID_Y_EN: 0
; COMPUTE_PGM_RSRC2:TGID_Z_EN: 0
; COMPUTE_PGM_RSRC2:TIDIG_COMP_CNT: 0
	.section	.text._ZN7rocprim17ROCPRIM_304000_NS6detail26onesweep_histograms_kernelINS1_34wrapped_radix_sort_onesweep_configINS0_14default_configEiN2at4cuda3cub6detail10OpaqueTypeILi4EEEEELb1EPKimNS0_19identity_decomposerEEEvT1_PT2_SG_SG_T3_jj,"axG",@progbits,_ZN7rocprim17ROCPRIM_304000_NS6detail26onesweep_histograms_kernelINS1_34wrapped_radix_sort_onesweep_configINS0_14default_configEiN2at4cuda3cub6detail10OpaqueTypeILi4EEEEELb1EPKimNS0_19identity_decomposerEEEvT1_PT2_SG_SG_T3_jj,comdat
	.protected	_ZN7rocprim17ROCPRIM_304000_NS6detail26onesweep_histograms_kernelINS1_34wrapped_radix_sort_onesweep_configINS0_14default_configEiN2at4cuda3cub6detail10OpaqueTypeILi4EEEEELb1EPKimNS0_19identity_decomposerEEEvT1_PT2_SG_SG_T3_jj ; -- Begin function _ZN7rocprim17ROCPRIM_304000_NS6detail26onesweep_histograms_kernelINS1_34wrapped_radix_sort_onesweep_configINS0_14default_configEiN2at4cuda3cub6detail10OpaqueTypeILi4EEEEELb1EPKimNS0_19identity_decomposerEEEvT1_PT2_SG_SG_T3_jj
	.globl	_ZN7rocprim17ROCPRIM_304000_NS6detail26onesweep_histograms_kernelINS1_34wrapped_radix_sort_onesweep_configINS0_14default_configEiN2at4cuda3cub6detail10OpaqueTypeILi4EEEEELb1EPKimNS0_19identity_decomposerEEEvT1_PT2_SG_SG_T3_jj
	.p2align	8
	.type	_ZN7rocprim17ROCPRIM_304000_NS6detail26onesweep_histograms_kernelINS1_34wrapped_radix_sort_onesweep_configINS0_14default_configEiN2at4cuda3cub6detail10OpaqueTypeILi4EEEEELb1EPKimNS0_19identity_decomposerEEEvT1_PT2_SG_SG_T3_jj,@function
_ZN7rocprim17ROCPRIM_304000_NS6detail26onesweep_histograms_kernelINS1_34wrapped_radix_sort_onesweep_configINS0_14default_configEiN2at4cuda3cub6detail10OpaqueTypeILi4EEEEELb1EPKimNS0_19identity_decomposerEEEvT1_PT2_SG_SG_T3_jj: ; @_ZN7rocprim17ROCPRIM_304000_NS6detail26onesweep_histograms_kernelINS1_34wrapped_radix_sort_onesweep_configINS0_14default_configEiN2at4cuda3cub6detail10OpaqueTypeILi4EEEEELb1EPKimNS0_19identity_decomposerEEEvT1_PT2_SG_SG_T3_jj
; %bb.0:
	s_load_dwordx8 s[24:31], s[4:5], 0x0
	s_load_dwordx2 s[34:35], s[4:5], 0x24
	v_mov_b32_e32 v1, s6
	s_mul_hi_u32 s0, s6, 0x6000
	s_mulk_i32 s6, 0x6000
	s_waitcnt lgkmcnt(0)
	s_add_u32 s1, s24, s6
	v_mov_b32_e32 v2, 0
	s_addc_u32 s0, s25, s0
	v_lshlrev_b32_e32 v6, 2, v0
	v_cmp_le_u64_e32 vcc, s[30:31], v[1:2]
	v_mov_b32_e32 v2, s0
	v_add_co_u32_e64 v1, s[0:1], s1, v6
	v_addc_co_u32_e64 v2, s[0:1], 0, v2, s[0:1]
	v_and_b32_e32 v5, 3, v0
	s_mov_b64 s[0:1], -1
	s_cbranch_vccz .LBB10_83
; %bb.1:
	s_mul_i32 s24, s30, 0xffffe800
	s_add_i32 s24, s24, s28
	v_cmp_gt_u32_e64 s[22:23], s24, v0
                                        ; implicit-def: $vgpr17
	s_and_saveexec_b64 s[0:1], s[22:23]
	s_cbranch_execz .LBB10_3
; %bb.2:
	global_load_dword v3, v[1:2], off
	s_waitcnt vmcnt(0)
	v_xor_b32_e32 v17, 0x7fffffff, v3
.LBB10_3:
	s_or_b64 exec, exec, s[0:1]
	v_or_b32_e32 v3, 0x200, v0
	v_cmp_gt_u32_e64 s[20:21], s24, v3
                                        ; implicit-def: $vgpr16
	s_and_saveexec_b64 s[0:1], s[20:21]
	s_cbranch_execz .LBB10_5
; %bb.4:
	global_load_dword v3, v[1:2], off offset:2048
	s_waitcnt vmcnt(0)
	v_xor_b32_e32 v16, 0x7fffffff, v3
.LBB10_5:
	s_or_b64 exec, exec, s[0:1]
	v_or_b32_e32 v3, 0x400, v0
	v_cmp_gt_u32_e64 s[18:19], s24, v3
                                        ; implicit-def: $vgpr15
	s_and_saveexec_b64 s[0:1], s[18:19]
	s_cbranch_execz .LBB10_7
; %bb.6:
	v_add_co_u32_e32 v3, vcc, 0x1000, v1
	v_addc_co_u32_e32 v4, vcc, 0, v2, vcc
	global_load_dword v3, v[3:4], off
	s_waitcnt vmcnt(0)
	v_xor_b32_e32 v15, 0x7fffffff, v3
.LBB10_7:
	s_or_b64 exec, exec, s[0:1]
	v_or_b32_e32 v3, 0x600, v0
	v_cmp_gt_u32_e64 s[16:17], s24, v3
                                        ; implicit-def: $vgpr14
	s_and_saveexec_b64 s[0:1], s[16:17]
	s_cbranch_execz .LBB10_9
; %bb.8:
	v_add_co_u32_e32 v3, vcc, 0x1000, v1
	v_addc_co_u32_e32 v4, vcc, 0, v2, vcc
	global_load_dword v3, v[3:4], off offset:2048
	s_waitcnt vmcnt(0)
	v_xor_b32_e32 v14, 0x7fffffff, v3
.LBB10_9:
	s_or_b64 exec, exec, s[0:1]
	v_or_b32_e32 v3, 0x800, v0
	v_cmp_gt_u32_e64 s[14:15], s24, v3
                                        ; implicit-def: $vgpr13
	s_and_saveexec_b64 s[0:1], s[14:15]
	s_cbranch_execz .LBB10_11
; %bb.10:
	v_add_co_u32_e32 v3, vcc, 0x2000, v1
	v_addc_co_u32_e32 v4, vcc, 0, v2, vcc
	global_load_dword v3, v[3:4], off
	s_waitcnt vmcnt(0)
	v_xor_b32_e32 v13, 0x7fffffff, v3
.LBB10_11:
	s_or_b64 exec, exec, s[0:1]
	v_or_b32_e32 v3, 0xa00, v0
	v_cmp_gt_u32_e64 s[12:13], s24, v3
                                        ; implicit-def: $vgpr12
	s_and_saveexec_b64 s[0:1], s[12:13]
	s_cbranch_execz .LBB10_13
; %bb.12:
	v_add_co_u32_e32 v3, vcc, 0x2000, v1
	v_addc_co_u32_e32 v4, vcc, 0, v2, vcc
	global_load_dword v3, v[3:4], off offset:2048
	s_waitcnt vmcnt(0)
	v_xor_b32_e32 v12, 0x7fffffff, v3
.LBB10_13:
	s_or_b64 exec, exec, s[0:1]
	v_or_b32_e32 v3, 0xc00, v0
	v_cmp_gt_u32_e64 s[10:11], s24, v3
                                        ; implicit-def: $vgpr10
	s_and_saveexec_b64 s[0:1], s[10:11]
	s_cbranch_execz .LBB10_15
; %bb.14:
	v_add_co_u32_e32 v3, vcc, 0x3000, v1
	v_addc_co_u32_e32 v4, vcc, 0, v2, vcc
	global_load_dword v3, v[3:4], off
	s_waitcnt vmcnt(0)
	v_xor_b32_e32 v10, 0x7fffffff, v3
.LBB10_15:
	s_or_b64 exec, exec, s[0:1]
	v_or_b32_e32 v3, 0xe00, v0
	v_cmp_gt_u32_e64 s[8:9], s24, v3
                                        ; implicit-def: $vgpr9
	s_and_saveexec_b64 s[0:1], s[8:9]
	s_cbranch_execz .LBB10_17
; %bb.16:
	v_add_co_u32_e32 v3, vcc, 0x3000, v1
	v_addc_co_u32_e32 v4, vcc, 0, v2, vcc
	global_load_dword v3, v[3:4], off offset:2048
	s_waitcnt vmcnt(0)
	v_xor_b32_e32 v9, 0x7fffffff, v3
.LBB10_17:
	s_or_b64 exec, exec, s[0:1]
	v_or_b32_e32 v3, 0x1000, v0
	v_cmp_gt_u32_e64 s[6:7], s24, v3
                                        ; implicit-def: $vgpr8
	s_and_saveexec_b64 s[0:1], s[6:7]
	s_cbranch_execz .LBB10_19
; %bb.18:
	v_add_co_u32_e32 v3, vcc, 0x4000, v1
	v_addc_co_u32_e32 v4, vcc, 0, v2, vcc
	global_load_dword v3, v[3:4], off
	s_waitcnt vmcnt(0)
	v_xor_b32_e32 v8, 0x7fffffff, v3
.LBB10_19:
	s_or_b64 exec, exec, s[0:1]
	v_or_b32_e32 v3, 0x1200, v0
	v_cmp_gt_u32_e64 s[4:5], s24, v3
                                        ; implicit-def: $vgpr7
	s_and_saveexec_b64 s[0:1], s[4:5]
	s_cbranch_execz .LBB10_21
; %bb.20:
	v_add_co_u32_e32 v3, vcc, 0x4000, v1
	v_addc_co_u32_e32 v4, vcc, 0, v2, vcc
	global_load_dword v3, v[3:4], off offset:2048
	s_waitcnt vmcnt(0)
	v_xor_b32_e32 v7, 0x7fffffff, v3
.LBB10_21:
	s_or_b64 exec, exec, s[0:1]
	v_or_b32_e32 v3, 0x1400, v0
	v_cmp_gt_u32_e64 s[2:3], s24, v3
                                        ; implicit-def: $vgpr4
	s_and_saveexec_b64 s[0:1], s[2:3]
	s_cbranch_execz .LBB10_23
; %bb.22:
	v_add_co_u32_e32 v3, vcc, 0x5000, v1
	v_addc_co_u32_e32 v4, vcc, 0, v2, vcc
	global_load_dword v3, v[3:4], off
	s_waitcnt vmcnt(0)
	v_xor_b32_e32 v4, 0x7fffffff, v3
.LBB10_23:
	s_or_b64 exec, exec, s[0:1]
	v_or_b32_e32 v3, 0x1600, v0
	v_cmp_gt_u32_e64 s[0:1], s24, v3
                                        ; implicit-def: $vgpr3
	s_and_saveexec_b64 s[24:25], s[0:1]
	s_cbranch_execz .LBB10_25
; %bb.24:
	v_add_co_u32_e32 v18, vcc, 0x5000, v1
	v_addc_co_u32_e32 v19, vcc, 0, v2, vcc
	global_load_dword v3, v[18:19], off offset:2048
	s_waitcnt vmcnt(0)
	v_xor_b32_e32 v3, 0x7fffffff, v3
.LBB10_25:
	s_or_b64 exec, exec, s[24:25]
	s_movk_i32 s24, 0x380
	v_cmp_gt_u32_e32 vcc, s24, v0
	s_and_saveexec_b64 s[24:25], vcc
	s_cbranch_execz .LBB10_28
; %bb.26:
	v_or_b32_e32 v11, 0xfffffe00, v0
	v_lshlrev_b32_e32 v18, 2, v0
	s_mov_b64 s[28:29], 0
	v_mov_b32_e32 v19, 0
	s_movk_i32 s30, 0x17f
.LBB10_27:                              ; =>This Inner Loop Header: Depth=1
	v_add_u32_e32 v11, 0x200, v11
	v_cmp_lt_u32_e32 vcc, s30, v11
	ds_write_b32 v18, v19
	s_or_b64 s[28:29], vcc, s[28:29]
	v_add_u32_e32 v18, 0x800, v18
	s_andn2_b64 exec, exec, s[28:29]
	s_cbranch_execnz .LBB10_27
.LBB10_28:
	s_or_b64 exec, exec, s[24:25]
	s_cmp_gt_u32 s35, s34
	s_cselect_b64 s[24:25], -1, 0
	s_cmp_le_u32 s35, s34
	s_waitcnt lgkmcnt(0)
	s_barrier
	s_cbranch_scc1 .LBB10_77
; %bb.29:
	v_lshlrev_b32_e32 v11, 2, v5
	s_sub_i32 s30, s35, s34
	v_mov_b32_e32 v18, 1
	s_mov_b32 s31, s30
	v_mov_b32_e32 v19, v11
	s_mov_b32 s33, s34
	s_branch .LBB10_31
.LBB10_30:                              ;   in Loop: Header=BB10_31 Depth=1
	s_or_b64 exec, exec, s[28:29]
	s_add_i32 s33, s33, 5
	s_add_i32 s31, s31, -5
	s_cmp_lt_u32 s33, s35
	v_add_u32_e32 v19, 0x200, v19
	s_cbranch_scc0 .LBB10_33
.LBB10_31:                              ; =>This Inner Loop Header: Depth=1
	s_and_saveexec_b64 s[28:29], s[22:23]
	s_cbranch_execz .LBB10_30
; %bb.32:                               ;   in Loop: Header=BB10_31 Depth=1
	s_min_u32 s36, s31, 5
	v_lshrrev_b32_e32 v20, s33, v17
	v_bfe_u32 v20, v20, 0, s36
	v_lshl_add_u32 v20, v20, 4, v19
	ds_add_u32 v20, v18
	s_branch .LBB10_30
.LBB10_33:
	v_mov_b32_e32 v17, 1
	s_mov_b32 s28, s30
	v_mov_b32_e32 v18, v11
	s_mov_b32 s29, s34
	s_branch .LBB10_35
.LBB10_34:                              ;   in Loop: Header=BB10_35 Depth=1
	s_or_b64 exec, exec, s[22:23]
	s_add_i32 s29, s29, 5
	s_add_i32 s28, s28, -5
	s_cmp_lt_u32 s29, s35
	v_add_u32_e32 v18, 0x200, v18
	s_cbranch_scc0 .LBB10_37
.LBB10_35:                              ; =>This Inner Loop Header: Depth=1
	s_and_saveexec_b64 s[22:23], s[20:21]
	s_cbranch_execz .LBB10_34
; %bb.36:                               ;   in Loop: Header=BB10_35 Depth=1
	s_min_u32 s31, s28, 5
	v_lshrrev_b32_e32 v19, s29, v16
	v_bfe_u32 v19, v19, 0, s31
	v_lshl_add_u32 v19, v19, 4, v18
	ds_add_u32 v19, v17
	s_branch .LBB10_34
.LBB10_37:
	;; [unrolled: 23-line block ×11, first 2 shown]
	v_mov_b32_e32 v4, 1
	s_mov_b32 s4, s34
	s_branch .LBB10_75
.LBB10_74:                              ;   in Loop: Header=BB10_75 Depth=1
	s_or_b64 exec, exec, s[2:3]
	s_add_i32 s4, s4, 5
	s_add_i32 s30, s30, -5
	s_cmp_lt_u32 s4, s35
	v_add_u32_e32 v11, 0x200, v11
	s_cbranch_scc0 .LBB10_77
.LBB10_75:                              ; =>This Inner Loop Header: Depth=1
	s_and_saveexec_b64 s[2:3], s[0:1]
	s_cbranch_execz .LBB10_74
; %bb.76:                               ;   in Loop: Header=BB10_75 Depth=1
	s_min_u32 s5, s30, 5
	v_lshrrev_b32_e32 v7, s4, v3
	v_bfe_u32 v7, v7, 0, s5
	v_lshl_add_u32 v7, v7, 4, v11
	ds_add_u32 v7, v4
	s_branch .LBB10_74
.LBB10_77:
	s_and_b64 vcc, exec, s[24:25]
	s_waitcnt lgkmcnt(0)
	s_barrier
	s_cbranch_vccz .LBB10_82
; %bb.78:
	v_cmp_gt_u32_e32 vcc, 32, v0
	v_lshlrev_b32_e32 v7, 4, v0
	v_mov_b32_e32 v4, 0
	v_mov_b32_e32 v3, v0
	s_mov_b32 s4, s34
	s_branch .LBB10_80
.LBB10_79:                              ;   in Loop: Header=BB10_80 Depth=1
	s_or_b64 exec, exec, s[2:3]
	s_add_i32 s4, s4, 5
	v_add_u32_e32 v3, 32, v3
	s_cmp_lt_u32 s4, s35
	v_add_u32_e32 v7, 0x200, v7
	s_cbranch_scc0 .LBB10_82
.LBB10_80:                              ; =>This Inner Loop Header: Depth=1
	s_and_saveexec_b64 s[2:3], vcc
	s_cbranch_execz .LBB10_79
; %bb.81:                               ;   in Loop: Header=BB10_80 Depth=1
	ds_read2_b32 v[8:9], v7 offset1:1
	ds_read2_b32 v[10:11], v7 offset0:2 offset1:3
	v_lshlrev_b64 v[12:13], 3, v[3:4]
	v_mov_b32_e32 v14, s27
	s_waitcnt lgkmcnt(1)
	v_add_u32_e32 v8, v9, v8
	s_waitcnt lgkmcnt(0)
	v_add3_u32 v8, v8, v10, v11
	v_add_co_u32_e64 v10, s[0:1], s26, v12
	v_addc_co_u32_e64 v11, s[0:1], v14, v13, s[0:1]
	v_mov_b32_e32 v9, v4
	global_atomic_add_x2 v[10:11], v[8:9], off
	s_branch .LBB10_79
.LBB10_82:
	s_mov_b64 s[0:1], 0
.LBB10_83:
	s_and_b64 vcc, exec, s[0:1]
	s_cbranch_vccz .LBB10_125
; %bb.84:
	v_add_co_u32_e32 v13, vcc, 0x1000, v1
	v_addc_co_u32_e32 v14, vcc, 0, v2, vcc
	v_add_co_u32_e32 v15, vcc, 0x2000, v1
	v_addc_co_u32_e32 v16, vcc, 0, v2, vcc
	;; [unrolled: 2-line block ×3, first 2 shown]
	global_load_dword v3, v[1:2], off
	global_load_dword v4, v[1:2], off offset:2048
	global_load_dword v7, v[13:14], off
	global_load_dword v8, v[13:14], off offset:2048
	;; [unrolled: 2-line block ×4, first 2 shown]
	v_add_co_u32_e32 v17, vcc, 0x4000, v1
	v_addc_co_u32_e32 v18, vcc, 0, v2, vcc
	v_add_co_u32_e32 v1, vcc, 0x5000, v1
	v_addc_co_u32_e32 v2, vcc, 0, v2, vcc
	global_load_dword v13, v[17:18], off
	global_load_dword v14, v[17:18], off offset:2048
	global_load_dword v15, v[1:2], off
	global_load_dword v16, v[1:2], off offset:2048
	s_cmp_lg_u32 s34, 0
	s_cselect_b64 s[0:1], -1, 0
	s_cmp_lg_u32 s35, 32
	s_cselect_b64 s[2:3], -1, 0
	s_or_b64 s[4:5], s[0:1], s[2:3]
	s_movk_i32 s0, 0x380
	v_cmp_gt_u32_e64 s[0:1], s0, v0
	s_mov_b64 s[2:3], -1
	s_and_b64 vcc, exec, s[4:5]
	s_cbranch_vccz .LBB10_119
; %bb.85:
	s_and_saveexec_b64 s[2:3], s[0:1]
	s_cbranch_execz .LBB10_88
; %bb.86:
	v_or_b32_e32 v1, 0xfffffe00, v0
	v_lshlrev_b32_e32 v2, 2, v0
	s_mov_b64 s[4:5], 0
	v_mov_b32_e32 v17, 0
	s_movk_i32 s6, 0x17f
.LBB10_87:                              ; =>This Inner Loop Header: Depth=1
	v_add_u32_e32 v1, 0x200, v1
	v_cmp_lt_u32_e32 vcc, s6, v1
	ds_write_b32 v2, v17
	s_or_b64 s[4:5], vcc, s[4:5]
	v_add_u32_e32 v2, 0x800, v2
	s_andn2_b64 exec, exec, s[4:5]
	s_cbranch_execnz .LBB10_87
.LBB10_88:
	s_or_b64 exec, exec, s[2:3]
	s_cmp_gt_u32 s35, s34
	s_cselect_b64 s[2:3], -1, 0
	s_cmp_le_u32 s35, s34
	s_waitcnt vmcnt(0) lgkmcnt(0)
	s_barrier
	s_cbranch_scc1 .LBB10_113
; %bb.89:
	v_lshlrev_b32_e32 v1, 2, v5
	s_sub_i32 s4, s35, s34
	v_xor_b32_e32 v2, 0x7fffffff, v3
	v_mov_b32_e32 v17, 1
	s_mov_b32 s5, s4
	v_mov_b32_e32 v18, v1
	s_mov_b32 s6, s34
.LBB10_90:                              ; =>This Inner Loop Header: Depth=1
	s_min_u32 s7, s5, 5
	v_lshrrev_b32_e32 v19, s6, v2
	v_bfe_u32 v19, v19, 0, s7
	v_lshl_add_u32 v19, v19, 4, v18
	ds_add_u32 v19, v17
	s_add_i32 s6, s6, 5
	s_add_i32 s5, s5, -5
	s_cmp_lt_u32 s6, s35
	v_add_u32_e32 v18, 0x200, v18
	s_cbranch_scc1 .LBB10_90
; %bb.91:
	v_xor_b32_e32 v2, 0x7fffffff, v4
	v_mov_b32_e32 v17, 1
	s_mov_b32 s5, s4
	v_mov_b32_e32 v18, v1
	s_mov_b32 s6, s34
.LBB10_92:                              ; =>This Inner Loop Header: Depth=1
	s_min_u32 s7, s5, 5
	v_lshrrev_b32_e32 v19, s6, v2
	v_bfe_u32 v19, v19, 0, s7
	v_lshl_add_u32 v19, v19, 4, v18
	ds_add_u32 v19, v17
	s_add_i32 s6, s6, 5
	s_add_i32 s5, s5, -5
	s_cmp_lt_u32 s6, s35
	v_add_u32_e32 v18, 0x200, v18
	s_cbranch_scc1 .LBB10_92
; %bb.93:
	;; [unrolled: 17-line block ×5, first 2 shown]
	v_xor_b32_e32 v2, 0x7fffffff, v10
	v_mov_b32_e32 v17, 1
	s_mov_b32 s5, s4
	v_mov_b32_e32 v18, v1
	s_mov_b32 s6, s34
.LBB10_100:                             ; =>This Inner Loop Header: Depth=1
	s_min_u32 s7, s5, 5
	v_lshrrev_b32_e32 v19, s6, v2
	v_bfe_u32 v19, v19, 0, s7
	v_lshl_add_u32 v19, v19, 4, v18
	ds_add_u32 v19, v17
	s_add_i32 s6, s6, 5
	s_add_i32 s5, s5, -5
	s_cmp_lt_u32 s6, s35
	v_add_u32_e32 v18, 0x200, v18
	s_cbranch_scc1 .LBB10_100
; %bb.101:
	v_xor_b32_e32 v2, 0x7fffffff, v11
	v_mov_b32_e32 v17, 1
	s_mov_b32 s5, s4
	v_mov_b32_e32 v18, v1
	s_mov_b32 s6, s34
.LBB10_102:                             ; =>This Inner Loop Header: Depth=1
	s_min_u32 s7, s5, 5
	v_lshrrev_b32_e32 v19, s6, v2
	v_bfe_u32 v19, v19, 0, s7
	v_lshl_add_u32 v19, v19, 4, v18
	ds_add_u32 v19, v17
	s_add_i32 s6, s6, 5
	s_add_i32 s5, s5, -5
	s_cmp_lt_u32 s6, s35
	v_add_u32_e32 v18, 0x200, v18
	s_cbranch_scc1 .LBB10_102
; %bb.103:
	;; [unrolled: 17-line block ×6, first 2 shown]
	v_xor_b32_e32 v2, 0x7fffffff, v16
	v_mov_b32_e32 v17, 1
	s_mov_b32 s5, s34
.LBB10_112:                             ; =>This Inner Loop Header: Depth=1
	s_min_u32 s6, s4, 5
	v_lshrrev_b32_e32 v18, s5, v2
	v_bfe_u32 v18, v18, 0, s6
	v_lshl_add_u32 v18, v18, 4, v1
	ds_add_u32 v18, v17
	s_add_i32 s5, s5, 5
	s_add_i32 s4, s4, -5
	s_cmp_lt_u32 s5, s35
	v_add_u32_e32 v1, 0x200, v1
	s_cbranch_scc1 .LBB10_112
.LBB10_113:
	s_and_b64 vcc, exec, s[2:3]
	s_waitcnt lgkmcnt(0)
	s_barrier
	s_cbranch_vccz .LBB10_118
; %bb.114:
	v_cmp_gt_u32_e32 vcc, 32, v0
	v_lshlrev_b32_e32 v17, 4, v0
	v_mov_b32_e32 v2, 0
	v_mov_b32_e32 v1, v0
	s_branch .LBB10_116
.LBB10_115:                             ;   in Loop: Header=BB10_116 Depth=1
	s_or_b64 exec, exec, s[4:5]
	s_add_i32 s34, s34, 5
	v_add_u32_e32 v1, 32, v1
	s_cmp_ge_u32 s34, s35
	v_add_u32_e32 v17, 0x200, v17
	s_cbranch_scc1 .LBB10_118
.LBB10_116:                             ; =>This Inner Loop Header: Depth=1
	s_and_saveexec_b64 s[4:5], vcc
	s_cbranch_execz .LBB10_115
; %bb.117:                              ;   in Loop: Header=BB10_116 Depth=1
	ds_read2_b32 v[18:19], v17 offset1:1
	ds_read2_b32 v[20:21], v17 offset0:2 offset1:3
	v_lshlrev_b64 v[22:23], 3, v[1:2]
	v_mov_b32_e32 v24, s27
	s_waitcnt lgkmcnt(1)
	v_add_u32_e32 v18, v19, v18
	s_waitcnt lgkmcnt(0)
	v_add3_u32 v18, v18, v20, v21
	v_add_co_u32_e64 v20, s[2:3], s26, v22
	v_addc_co_u32_e64 v21, s[2:3], v24, v23, s[2:3]
	v_mov_b32_e32 v19, v2
	global_atomic_add_x2 v[20:21], v[18:19], off
	s_branch .LBB10_115
.LBB10_118:
	s_mov_b64 s[2:3], 0
.LBB10_119:
	s_and_b64 vcc, exec, s[2:3]
	s_cbranch_vccz .LBB10_125
; %bb.120:
	s_and_saveexec_b64 s[2:3], s[0:1]
	s_cbranch_execz .LBB10_123
; %bb.121:
	v_or_b32_e32 v1, 0xfffffe00, v0
	s_mov_b64 s[0:1], 0
	v_mov_b32_e32 v2, 0
	s_movk_i32 s4, 0x17f
.LBB10_122:                             ; =>This Inner Loop Header: Depth=1
	v_add_u32_e32 v1, 0x200, v1
	v_cmp_lt_u32_e32 vcc, s4, v1
	ds_write_b32 v6, v2
	s_or_b64 s[0:1], vcc, s[0:1]
	v_add_u32_e32 v6, 0x800, v6
	s_andn2_b64 exec, exec, s[0:1]
	s_cbranch_execnz .LBB10_122
.LBB10_123:
	s_or_b64 exec, exec, s[2:3]
	s_waitcnt vmcnt(11)
	v_xor_b32_e32 v1, 0x7fffffff, v3
	s_waitcnt vmcnt(10)
	v_xor_b32_e32 v2, 0x7fffffff, v4
	s_waitcnt vmcnt(8)
	v_xor_b32_e32 v4, 0x7fffffff, v8
	s_waitcnt vmcnt(5)
	v_xor_b32_e32 v8, 0x7fffffff, v11
	s_waitcnt vmcnt(2)
	v_xor_b32_e32 v11, 0x7fffffff, v14
	v_lshlrev_b32_e32 v14, 4, v1
	v_lshlrev_b32_e32 v5, 2, v5
	s_movk_i32 s0, 0x1f0
	v_xor_b32_e32 v6, 0x7fffffff, v9
	v_xor_b32_e32 v9, 0x7fffffff, v12
	s_waitcnt vmcnt(1)
	v_xor_b32_e32 v12, 0x7fffffff, v15
	v_and_or_b32 v14, v14, s0, v5
	v_mov_b32_e32 v15, 1
	s_waitcnt vmcnt(0) lgkmcnt(0)
	s_barrier
	ds_add_u32 v14, v15
	v_lshrrev_b32_e32 v14, 1, v1
	v_and_or_b32 v14, v14, s0, v5
	ds_add_u32 v14, v15 offset:512
	v_lshrrev_b32_e32 v14, 6, v1
	v_and_or_b32 v14, v14, s0, v5
	ds_add_u32 v14, v15 offset:1024
	;; [unrolled: 3-line block ×4, first 2 shown]
	v_lshrrev_b32_e32 v14, 21, v1
	v_and_or_b32 v14, v14, s0, v5
	v_lshrrev_b32_e32 v1, 26, v1
	ds_add_u32 v14, v15 offset:2560
	v_and_or_b32 v1, v1, 48, v5
	ds_add_u32 v1, v15 offset:3072
	v_lshlrev_b32_e32 v1, 4, v2
	v_and_or_b32 v1, v1, s0, v5
	ds_add_u32 v1, v15
	v_lshrrev_b32_e32 v1, 1, v2
	v_and_or_b32 v1, v1, s0, v5
	ds_add_u32 v1, v15 offset:512
	v_lshrrev_b32_e32 v1, 6, v2
	v_and_or_b32 v1, v1, s0, v5
	ds_add_u32 v1, v15 offset:1024
	v_lshrrev_b32_e32 v1, 11, v2
	v_and_or_b32 v1, v1, s0, v5
	ds_add_u32 v1, v15 offset:1536
	v_lshrrev_b32_e32 v1, 16, v2
	v_and_or_b32 v1, v1, s0, v5
	ds_add_u32 v1, v15 offset:2048
	v_lshrrev_b32_e32 v1, 21, v2
	v_and_or_b32 v1, v1, s0, v5
	ds_add_u32 v1, v15 offset:2560
	v_lshrrev_b32_e32 v1, 26, v2
	v_xor_b32_e32 v3, 0x7fffffff, v7
	v_and_or_b32 v1, v1, 48, v5
	ds_add_u32 v1, v15 offset:3072
	v_lshlrev_b32_e32 v1, 4, v3
	v_and_or_b32 v1, v1, s0, v5
	ds_add_u32 v1, v15
	v_lshrrev_b32_e32 v1, 1, v3
	v_and_or_b32 v1, v1, s0, v5
	ds_add_u32 v1, v15 offset:512
	v_lshrrev_b32_e32 v1, 6, v3
	v_and_or_b32 v1, v1, s0, v5
	ds_add_u32 v1, v15 offset:1024
	v_lshrrev_b32_e32 v1, 11, v3
	v_and_or_b32 v1, v1, s0, v5
	ds_add_u32 v1, v15 offset:1536
	v_lshrrev_b32_e32 v1, 16, v3
	v_and_or_b32 v1, v1, s0, v5
	ds_add_u32 v1, v15 offset:2048
	v_lshrrev_b32_e32 v1, 21, v3
	v_and_or_b32 v1, v1, s0, v5
	ds_add_u32 v1, v15 offset:2560
	v_lshrrev_b32_e32 v1, 26, v3
	v_and_or_b32 v1, v1, 48, v5
	ds_add_u32 v1, v15 offset:3072
	v_lshlrev_b32_e32 v1, 4, v4
	v_and_or_b32 v1, v1, s0, v5
	ds_add_u32 v1, v15
	v_lshrrev_b32_e32 v1, 1, v4
	v_and_or_b32 v1, v1, s0, v5
	ds_add_u32 v1, v15 offset:512
	v_lshrrev_b32_e32 v1, 6, v4
	v_and_or_b32 v1, v1, s0, v5
	ds_add_u32 v1, v15 offset:1024
	v_lshrrev_b32_e32 v1, 11, v4
	v_and_or_b32 v1, v1, s0, v5
	ds_add_u32 v1, v15 offset:1536
	v_lshrrev_b32_e32 v1, 16, v4
	v_and_or_b32 v1, v1, s0, v5
	ds_add_u32 v1, v15 offset:2048
	v_lshrrev_b32_e32 v1, 21, v4
	v_and_or_b32 v1, v1, s0, v5
	ds_add_u32 v1, v15 offset:2560
	v_lshrrev_b32_e32 v1, 26, v4
	v_and_or_b32 v1, v1, 48, v5
	ds_add_u32 v1, v15 offset:3072
	v_lshlrev_b32_e32 v1, 4, v6
	v_and_or_b32 v1, v1, s0, v5
	ds_add_u32 v1, v15
	v_lshrrev_b32_e32 v1, 1, v6
	v_and_or_b32 v1, v1, s0, v5
	ds_add_u32 v1, v15 offset:512
	v_lshrrev_b32_e32 v1, 6, v6
	v_and_or_b32 v1, v1, s0, v5
	ds_add_u32 v1, v15 offset:1024
	v_lshrrev_b32_e32 v1, 11, v6
	v_and_or_b32 v1, v1, s0, v5
	ds_add_u32 v1, v15 offset:1536
	v_lshrrev_b32_e32 v1, 16, v6
	v_and_or_b32 v1, v1, s0, v5
	ds_add_u32 v1, v15 offset:2048
	v_lshrrev_b32_e32 v1, 21, v6
	v_and_or_b32 v1, v1, s0, v5
	ds_add_u32 v1, v15 offset:2560
	v_lshrrev_b32_e32 v1, 26, v6
	v_xor_b32_e32 v7, 0x7fffffff, v10
	v_and_or_b32 v1, v1, 48, v5
	ds_add_u32 v1, v15 offset:3072
	v_lshlrev_b32_e32 v1, 4, v7
	v_and_or_b32 v1, v1, s0, v5
	ds_add_u32 v1, v15
	v_lshrrev_b32_e32 v1, 1, v7
	v_and_or_b32 v1, v1, s0, v5
	ds_add_u32 v1, v15 offset:512
	v_lshrrev_b32_e32 v1, 6, v7
	v_and_or_b32 v1, v1, s0, v5
	ds_add_u32 v1, v15 offset:1024
	v_lshrrev_b32_e32 v1, 11, v7
	v_and_or_b32 v1, v1, s0, v5
	ds_add_u32 v1, v15 offset:1536
	v_lshrrev_b32_e32 v1, 16, v7
	v_and_or_b32 v1, v1, s0, v5
	ds_add_u32 v1, v15 offset:2048
	v_lshrrev_b32_e32 v1, 21, v7
	v_and_or_b32 v1, v1, s0, v5
	ds_add_u32 v1, v15 offset:2560
	v_lshrrev_b32_e32 v1, 26, v7
	v_and_or_b32 v1, v1, 48, v5
	ds_add_u32 v1, v15 offset:3072
	v_lshlrev_b32_e32 v1, 4, v8
	v_and_or_b32 v1, v1, s0, v5
	ds_add_u32 v1, v15
	v_lshrrev_b32_e32 v1, 1, v8
	v_and_or_b32 v1, v1, s0, v5
	ds_add_u32 v1, v15 offset:512
	v_lshrrev_b32_e32 v1, 6, v8
	v_and_or_b32 v1, v1, s0, v5
	ds_add_u32 v1, v15 offset:1024
	v_lshrrev_b32_e32 v1, 11, v8
	v_and_or_b32 v1, v1, s0, v5
	ds_add_u32 v1, v15 offset:1536
	v_lshrrev_b32_e32 v1, 16, v8
	v_and_or_b32 v1, v1, s0, v5
	ds_add_u32 v1, v15 offset:2048
	v_lshrrev_b32_e32 v1, 21, v8
	v_and_or_b32 v1, v1, s0, v5
	ds_add_u32 v1, v15 offset:2560
	v_lshrrev_b32_e32 v1, 26, v8
	;; [unrolled: 64-line block ×3, first 2 shown]
	v_and_or_b32 v1, v1, 48, v5
	ds_add_u32 v1, v15 offset:3072
	v_lshlrev_b32_e32 v1, 4, v12
	v_and_or_b32 v1, v1, s0, v5
	ds_add_u32 v1, v15
	v_lshrrev_b32_e32 v1, 1, v12
	v_and_or_b32 v1, v1, s0, v5
	ds_add_u32 v1, v15 offset:512
	v_lshrrev_b32_e32 v1, 6, v12
	v_and_or_b32 v1, v1, s0, v5
	ds_add_u32 v1, v15 offset:1024
	;; [unrolled: 3-line block ×5, first 2 shown]
	v_lshrrev_b32_e32 v1, 26, v12
	v_xor_b32_e32 v13, 0x7fffffff, v16
	v_and_or_b32 v1, v1, 48, v5
	ds_add_u32 v1, v15 offset:3072
	v_lshlrev_b32_e32 v1, 4, v13
	v_and_or_b32 v1, v1, s0, v5
	ds_add_u32 v1, v15
	v_lshrrev_b32_e32 v1, 1, v13
	v_and_or_b32 v1, v1, s0, v5
	ds_add_u32 v1, v15 offset:512
	v_lshrrev_b32_e32 v1, 6, v13
	v_and_or_b32 v1, v1, s0, v5
	ds_add_u32 v1, v15 offset:1024
	;; [unrolled: 3-line block ×6, first 2 shown]
	v_cmp_gt_u32_e32 vcc, 32, v0
	s_waitcnt lgkmcnt(0)
	s_barrier
	s_and_saveexec_b64 s[0:1], vcc
	s_cbranch_execz .LBB10_125
; %bb.124:
	v_lshlrev_b32_e32 v6, 4, v0
	ds_read2_b32 v[1:2], v6 offset1:1
	ds_read2_b32 v[3:4], v6 offset0:2 offset1:3
	v_lshlrev_b32_e32 v7, 3, v0
	v_mov_b32_e32 v5, 0
	v_add_u32_e32 v8, 0x400, v6
	s_waitcnt lgkmcnt(1)
	v_add_u32_e32 v0, v2, v1
	s_waitcnt lgkmcnt(0)
	v_add3_u32 v4, v0, v3, v4
	global_atomic_add_x2 v7, v[4:5], s[26:27]
	ds_read2_b32 v[0:1], v6 offset0:128 offset1:129
	ds_read2_b32 v[2:3], v6 offset0:130 offset1:131
	v_add_u32_e32 v9, 0x408, v6
	s_waitcnt lgkmcnt(1)
	v_add_u32_e32 v0, v1, v0
	s_waitcnt lgkmcnt(0)
	v_add3_u32 v4, v0, v2, v3
	global_atomic_add_x2 v7, v[4:5], s[26:27] offset:256
	ds_read2_b32 v[0:1], v8 offset1:1
	ds_read2_b32 v[2:3], v9 offset1:1
	v_add_u32_e32 v8, 0x600, v6
	v_add_u32_e32 v9, 0x608, v6
	s_waitcnt lgkmcnt(1)
	v_add_u32_e32 v0, v1, v0
	s_waitcnt lgkmcnt(0)
	v_add3_u32 v4, v0, v2, v3
	global_atomic_add_x2 v7, v[4:5], s[26:27] offset:512
	ds_read2_b32 v[0:1], v8 offset1:1
	ds_read2_b32 v[2:3], v9 offset1:1
	v_add_u32_e32 v8, 0x800, v6
	;; [unrolled: 9-line block ×4, first 2 shown]
	s_waitcnt lgkmcnt(1)
	v_add_u32_e32 v0, v1, v0
	s_waitcnt lgkmcnt(0)
	v_add3_u32 v4, v0, v2, v3
	global_atomic_add_x2 v7, v[4:5], s[26:27] offset:1280
	v_add_u32_e32 v2, 0xc08, v6
	ds_read2_b32 v[0:1], v8 offset1:1
	ds_read2_b32 v[2:3], v2 offset1:1
	s_waitcnt lgkmcnt(1)
	v_add_u32_e32 v0, v1, v0
	s_waitcnt lgkmcnt(0)
	v_add3_u32 v4, v0, v2, v3
	global_atomic_add_x2 v7, v[4:5], s[26:27] offset:1536
.LBB10_125:
	s_endpgm
	.section	.rodata,"a",@progbits
	.p2align	6, 0x0
	.amdhsa_kernel _ZN7rocprim17ROCPRIM_304000_NS6detail26onesweep_histograms_kernelINS1_34wrapped_radix_sort_onesweep_configINS0_14default_configEiN2at4cuda3cub6detail10OpaqueTypeILi4EEEEELb1EPKimNS0_19identity_decomposerEEEvT1_PT2_SG_SG_T3_jj
		.amdhsa_group_segment_fixed_size 3584
		.amdhsa_private_segment_fixed_size 0
		.amdhsa_kernarg_size 44
		.amdhsa_user_sgpr_count 6
		.amdhsa_user_sgpr_private_segment_buffer 1
		.amdhsa_user_sgpr_dispatch_ptr 0
		.amdhsa_user_sgpr_queue_ptr 0
		.amdhsa_user_sgpr_kernarg_segment_ptr 1
		.amdhsa_user_sgpr_dispatch_id 0
		.amdhsa_user_sgpr_flat_scratch_init 0
		.amdhsa_user_sgpr_private_segment_size 0
		.amdhsa_uses_dynamic_stack 0
		.amdhsa_system_sgpr_private_segment_wavefront_offset 0
		.amdhsa_system_sgpr_workgroup_id_x 1
		.amdhsa_system_sgpr_workgroup_id_y 0
		.amdhsa_system_sgpr_workgroup_id_z 0
		.amdhsa_system_sgpr_workgroup_info 0
		.amdhsa_system_vgpr_workitem_id 0
		.amdhsa_next_free_vgpr 25
		.amdhsa_next_free_sgpr 37
		.amdhsa_reserve_vcc 1
		.amdhsa_reserve_flat_scratch 0
		.amdhsa_float_round_mode_32 0
		.amdhsa_float_round_mode_16_64 0
		.amdhsa_float_denorm_mode_32 3
		.amdhsa_float_denorm_mode_16_64 3
		.amdhsa_dx10_clamp 1
		.amdhsa_ieee_mode 1
		.amdhsa_fp16_overflow 0
		.amdhsa_exception_fp_ieee_invalid_op 0
		.amdhsa_exception_fp_denorm_src 0
		.amdhsa_exception_fp_ieee_div_zero 0
		.amdhsa_exception_fp_ieee_overflow 0
		.amdhsa_exception_fp_ieee_underflow 0
		.amdhsa_exception_fp_ieee_inexact 0
		.amdhsa_exception_int_div_zero 0
	.end_amdhsa_kernel
	.section	.text._ZN7rocprim17ROCPRIM_304000_NS6detail26onesweep_histograms_kernelINS1_34wrapped_radix_sort_onesweep_configINS0_14default_configEiN2at4cuda3cub6detail10OpaqueTypeILi4EEEEELb1EPKimNS0_19identity_decomposerEEEvT1_PT2_SG_SG_T3_jj,"axG",@progbits,_ZN7rocprim17ROCPRIM_304000_NS6detail26onesweep_histograms_kernelINS1_34wrapped_radix_sort_onesweep_configINS0_14default_configEiN2at4cuda3cub6detail10OpaqueTypeILi4EEEEELb1EPKimNS0_19identity_decomposerEEEvT1_PT2_SG_SG_T3_jj,comdat
.Lfunc_end10:
	.size	_ZN7rocprim17ROCPRIM_304000_NS6detail26onesweep_histograms_kernelINS1_34wrapped_radix_sort_onesweep_configINS0_14default_configEiN2at4cuda3cub6detail10OpaqueTypeILi4EEEEELb1EPKimNS0_19identity_decomposerEEEvT1_PT2_SG_SG_T3_jj, .Lfunc_end10-_ZN7rocprim17ROCPRIM_304000_NS6detail26onesweep_histograms_kernelINS1_34wrapped_radix_sort_onesweep_configINS0_14default_configEiN2at4cuda3cub6detail10OpaqueTypeILi4EEEEELb1EPKimNS0_19identity_decomposerEEEvT1_PT2_SG_SG_T3_jj
                                        ; -- End function
	.set _ZN7rocprim17ROCPRIM_304000_NS6detail26onesweep_histograms_kernelINS1_34wrapped_radix_sort_onesweep_configINS0_14default_configEiN2at4cuda3cub6detail10OpaqueTypeILi4EEEEELb1EPKimNS0_19identity_decomposerEEEvT1_PT2_SG_SG_T3_jj.num_vgpr, 25
	.set _ZN7rocprim17ROCPRIM_304000_NS6detail26onesweep_histograms_kernelINS1_34wrapped_radix_sort_onesweep_configINS0_14default_configEiN2at4cuda3cub6detail10OpaqueTypeILi4EEEEELb1EPKimNS0_19identity_decomposerEEEvT1_PT2_SG_SG_T3_jj.num_agpr, 0
	.set _ZN7rocprim17ROCPRIM_304000_NS6detail26onesweep_histograms_kernelINS1_34wrapped_radix_sort_onesweep_configINS0_14default_configEiN2at4cuda3cub6detail10OpaqueTypeILi4EEEEELb1EPKimNS0_19identity_decomposerEEEvT1_PT2_SG_SG_T3_jj.numbered_sgpr, 37
	.set _ZN7rocprim17ROCPRIM_304000_NS6detail26onesweep_histograms_kernelINS1_34wrapped_radix_sort_onesweep_configINS0_14default_configEiN2at4cuda3cub6detail10OpaqueTypeILi4EEEEELb1EPKimNS0_19identity_decomposerEEEvT1_PT2_SG_SG_T3_jj.num_named_barrier, 0
	.set _ZN7rocprim17ROCPRIM_304000_NS6detail26onesweep_histograms_kernelINS1_34wrapped_radix_sort_onesweep_configINS0_14default_configEiN2at4cuda3cub6detail10OpaqueTypeILi4EEEEELb1EPKimNS0_19identity_decomposerEEEvT1_PT2_SG_SG_T3_jj.private_seg_size, 0
	.set _ZN7rocprim17ROCPRIM_304000_NS6detail26onesweep_histograms_kernelINS1_34wrapped_radix_sort_onesweep_configINS0_14default_configEiN2at4cuda3cub6detail10OpaqueTypeILi4EEEEELb1EPKimNS0_19identity_decomposerEEEvT1_PT2_SG_SG_T3_jj.uses_vcc, 1
	.set _ZN7rocprim17ROCPRIM_304000_NS6detail26onesweep_histograms_kernelINS1_34wrapped_radix_sort_onesweep_configINS0_14default_configEiN2at4cuda3cub6detail10OpaqueTypeILi4EEEEELb1EPKimNS0_19identity_decomposerEEEvT1_PT2_SG_SG_T3_jj.uses_flat_scratch, 0
	.set _ZN7rocprim17ROCPRIM_304000_NS6detail26onesweep_histograms_kernelINS1_34wrapped_radix_sort_onesweep_configINS0_14default_configEiN2at4cuda3cub6detail10OpaqueTypeILi4EEEEELb1EPKimNS0_19identity_decomposerEEEvT1_PT2_SG_SG_T3_jj.has_dyn_sized_stack, 0
	.set _ZN7rocprim17ROCPRIM_304000_NS6detail26onesweep_histograms_kernelINS1_34wrapped_radix_sort_onesweep_configINS0_14default_configEiN2at4cuda3cub6detail10OpaqueTypeILi4EEEEELb1EPKimNS0_19identity_decomposerEEEvT1_PT2_SG_SG_T3_jj.has_recursion, 0
	.set _ZN7rocprim17ROCPRIM_304000_NS6detail26onesweep_histograms_kernelINS1_34wrapped_radix_sort_onesweep_configINS0_14default_configEiN2at4cuda3cub6detail10OpaqueTypeILi4EEEEELb1EPKimNS0_19identity_decomposerEEEvT1_PT2_SG_SG_T3_jj.has_indirect_call, 0
	.section	.AMDGPU.csdata,"",@progbits
; Kernel info:
; codeLenInByte = 5908
; TotalNumSgprs: 41
; NumVgprs: 25
; ScratchSize: 0
; MemoryBound: 0
; FloatMode: 240
; IeeeMode: 1
; LDSByteSize: 3584 bytes/workgroup (compile time only)
; SGPRBlocks: 5
; VGPRBlocks: 6
; NumSGPRsForWavesPerEU: 41
; NumVGPRsForWavesPerEU: 25
; Occupancy: 9
; WaveLimiterHint : 1
; COMPUTE_PGM_RSRC2:SCRATCH_EN: 0
; COMPUTE_PGM_RSRC2:USER_SGPR: 6
; COMPUTE_PGM_RSRC2:TRAP_HANDLER: 0
; COMPUTE_PGM_RSRC2:TGID_X_EN: 1
; COMPUTE_PGM_RSRC2:TGID_Y_EN: 0
; COMPUTE_PGM_RSRC2:TGID_Z_EN: 0
; COMPUTE_PGM_RSRC2:TIDIG_COMP_CNT: 0
	.section	.text._ZN7rocprim17ROCPRIM_304000_NS6detail31onesweep_scan_histograms_kernelINS1_34wrapped_radix_sort_onesweep_configINS0_14default_configEiN2at4cuda3cub6detail10OpaqueTypeILi4EEEEEmEEvPT0_,"axG",@progbits,_ZN7rocprim17ROCPRIM_304000_NS6detail31onesweep_scan_histograms_kernelINS1_34wrapped_radix_sort_onesweep_configINS0_14default_configEiN2at4cuda3cub6detail10OpaqueTypeILi4EEEEEmEEvPT0_,comdat
	.protected	_ZN7rocprim17ROCPRIM_304000_NS6detail31onesweep_scan_histograms_kernelINS1_34wrapped_radix_sort_onesweep_configINS0_14default_configEiN2at4cuda3cub6detail10OpaqueTypeILi4EEEEEmEEvPT0_ ; -- Begin function _ZN7rocprim17ROCPRIM_304000_NS6detail31onesweep_scan_histograms_kernelINS1_34wrapped_radix_sort_onesweep_configINS0_14default_configEiN2at4cuda3cub6detail10OpaqueTypeILi4EEEEEmEEvPT0_
	.globl	_ZN7rocprim17ROCPRIM_304000_NS6detail31onesweep_scan_histograms_kernelINS1_34wrapped_radix_sort_onesweep_configINS0_14default_configEiN2at4cuda3cub6detail10OpaqueTypeILi4EEEEEmEEvPT0_
	.p2align	8
	.type	_ZN7rocprim17ROCPRIM_304000_NS6detail31onesweep_scan_histograms_kernelINS1_34wrapped_radix_sort_onesweep_configINS0_14default_configEiN2at4cuda3cub6detail10OpaqueTypeILi4EEEEEmEEvPT0_,@function
_ZN7rocprim17ROCPRIM_304000_NS6detail31onesweep_scan_histograms_kernelINS1_34wrapped_radix_sort_onesweep_configINS0_14default_configEiN2at4cuda3cub6detail10OpaqueTypeILi4EEEEEmEEvPT0_: ; @_ZN7rocprim17ROCPRIM_304000_NS6detail31onesweep_scan_histograms_kernelINS1_34wrapped_radix_sort_onesweep_configINS0_14default_configEiN2at4cuda3cub6detail10OpaqueTypeILi4EEEEEmEEvPT0_
; %bb.0:
	s_load_dwordx2 s[0:1], s[4:5], 0x0
	s_lshl_b32 s2, s6, 5
	s_mov_b32 s3, 0
	s_lshl_b64 s[2:3], s[2:3], 3
	v_cmp_gt_u32_e32 vcc, 32, v0
	s_waitcnt lgkmcnt(0)
	s_add_u32 s2, s0, s2
	s_addc_u32 s3, s1, s3
	v_lshlrev_b32_e32 v5, 3, v0
                                        ; implicit-def: $vgpr1_vgpr2
	s_and_saveexec_b64 s[0:1], vcc
	s_cbranch_execz .LBB11_2
; %bb.1:
	global_load_dwordx2 v[1:2], v5, s[2:3]
.LBB11_2:
	s_or_b64 exec, exec, s[0:1]
	v_mbcnt_lo_u32_b32 v3, -1, 0
	v_mbcnt_hi_u32_b32 v6, -1, v3
	v_and_b32_e32 v4, 15, v6
	s_waitcnt vmcnt(0)
	v_mov_b32_dpp v8, v1 row_shr:1 row_mask:0xf bank_mask:0xf
	v_mov_b32_dpp v7, v2 row_shr:1 row_mask:0xf bank_mask:0xf
	v_cmp_ne_u32_e64 s[0:1], 0, v4
	v_mov_b32_e32 v3, v1
	s_and_saveexec_b64 s[4:5], s[0:1]
; %bb.3:
	v_add_co_u32_e64 v3, s[0:1], v1, v8
	v_addc_co_u32_e64 v2, s[0:1], 0, v2, s[0:1]
	v_add_co_u32_e64 v1, s[0:1], 0, v3
	v_addc_co_u32_e64 v2, s[0:1], v7, v2, s[0:1]
; %bb.4:
	s_or_b64 exec, exec, s[4:5]
	v_mov_b32_dpp v8, v3 row_shr:2 row_mask:0xf bank_mask:0xf
	v_mov_b32_dpp v7, v2 row_shr:2 row_mask:0xf bank_mask:0xf
	v_cmp_lt_u32_e64 s[0:1], 1, v4
	s_and_saveexec_b64 s[4:5], s[0:1]
; %bb.5:
	v_add_co_u32_e64 v3, s[0:1], v1, v8
	v_addc_co_u32_e64 v2, s[0:1], 0, v2, s[0:1]
	v_add_co_u32_e64 v1, s[0:1], 0, v3
	v_addc_co_u32_e64 v2, s[0:1], v7, v2, s[0:1]
; %bb.6:
	s_or_b64 exec, exec, s[4:5]
	v_mov_b32_dpp v8, v3 row_shr:4 row_mask:0xf bank_mask:0xf
	v_mov_b32_dpp v7, v2 row_shr:4 row_mask:0xf bank_mask:0xf
	v_cmp_lt_u32_e64 s[0:1], 3, v4
	;; [unrolled: 11-line block ×3, first 2 shown]
	s_and_saveexec_b64 s[4:5], s[0:1]
; %bb.9:
	v_add_co_u32_e64 v3, s[0:1], v1, v8
	v_addc_co_u32_e64 v2, s[0:1], 0, v2, s[0:1]
	v_add_co_u32_e64 v1, s[0:1], 0, v3
	v_addc_co_u32_e64 v2, s[0:1], v7, v2, s[0:1]
; %bb.10:
	s_or_b64 exec, exec, s[4:5]
	v_and_b32_e32 v8, 16, v6
	v_mov_b32_dpp v7, v3 row_bcast:15 row_mask:0xf bank_mask:0xf
	v_mov_b32_dpp v4, v2 row_bcast:15 row_mask:0xf bank_mask:0xf
	v_cmp_ne_u32_e64 s[0:1], 0, v8
	s_and_saveexec_b64 s[4:5], s[0:1]
; %bb.11:
	v_add_co_u32_e64 v3, s[0:1], v1, v7
	v_addc_co_u32_e64 v2, s[0:1], 0, v2, s[0:1]
	v_add_co_u32_e64 v1, s[0:1], 0, v3
	v_addc_co_u32_e64 v2, s[0:1], v4, v2, s[0:1]
; %bb.12:
	s_or_b64 exec, exec, s[4:5]
	v_mov_b32_dpp v3, v3 row_bcast:31 row_mask:0xf bank_mask:0xf
	v_add_co_u32_e64 v3, s[0:1], v1, v3
	v_addc_co_u32_e64 v7, s[0:1], 0, v2, s[0:1]
	v_mov_b32_dpp v4, v2 row_bcast:31 row_mask:0xf bank_mask:0xf
	v_add_co_u32_e64 v3, s[0:1], 0, v3
	v_addc_co_u32_e64 v4, s[0:1], v7, v4, s[0:1]
	v_cmp_lt_u32_e64 s[0:1], 31, v6
	v_cndmask_b32_e64 v1, v1, v3, s[0:1]
	v_or_b32_e32 v3, 63, v0
	v_cndmask_b32_e64 v2, v2, v4, s[0:1]
	v_lshrrev_b32_e32 v7, 6, v0
	v_cmp_eq_u32_e64 s[0:1], v0, v3
	s_and_saveexec_b64 s[4:5], s[0:1]
; %bb.13:
	v_lshlrev_b32_e32 v3, 3, v7
	ds_write_b64 v3, v[1:2]
; %bb.14:
	s_or_b64 exec, exec, s[4:5]
	v_cmp_gt_u32_e64 s[0:1], 8, v0
	s_waitcnt lgkmcnt(0)
	s_barrier
	s_and_saveexec_b64 s[4:5], s[0:1]
	s_cbranch_execz .LBB11_20
; %bb.15:
	ds_read_b64 v[3:4], v5
	v_and_b32_e32 v8, 7, v6
	v_cmp_ne_u32_e64 s[0:1], 0, v8
	s_waitcnt lgkmcnt(0)
	v_mov_b32_dpp v11, v3 row_shr:1 row_mask:0xf bank_mask:0xf
	v_mov_b32_dpp v10, v4 row_shr:1 row_mask:0xf bank_mask:0xf
	v_mov_b32_e32 v9, v3
	s_and_saveexec_b64 s[6:7], s[0:1]
; %bb.16:
	v_add_co_u32_e64 v9, s[0:1], v3, v11
	v_addc_co_u32_e64 v4, s[0:1], 0, v4, s[0:1]
	v_add_co_u32_e64 v3, s[0:1], 0, v9
	v_addc_co_u32_e64 v4, s[0:1], v10, v4, s[0:1]
; %bb.17:
	s_or_b64 exec, exec, s[6:7]
	v_mov_b32_dpp v11, v9 row_shr:2 row_mask:0xf bank_mask:0xf
	v_mov_b32_dpp v10, v4 row_shr:2 row_mask:0xf bank_mask:0xf
	v_cmp_lt_u32_e64 s[0:1], 1, v8
	s_and_saveexec_b64 s[6:7], s[0:1]
; %bb.18:
	v_add_co_u32_e64 v9, s[0:1], v3, v11
	v_addc_co_u32_e64 v4, s[0:1], 0, v4, s[0:1]
	v_add_co_u32_e64 v3, s[0:1], 0, v9
	v_addc_co_u32_e64 v4, s[0:1], v10, v4, s[0:1]
; %bb.19:
	s_or_b64 exec, exec, s[6:7]
	v_mov_b32_dpp v9, v9 row_shr:4 row_mask:0xf bank_mask:0xf
	v_cmp_lt_u32_e64 s[0:1], 3, v8
	v_mov_b32_dpp v10, v4 row_shr:4 row_mask:0xf bank_mask:0xf
	v_cndmask_b32_e64 v9, 0, v9, s[0:1]
	v_cndmask_b32_e64 v8, 0, v10, s[0:1]
	v_add_co_u32_e64 v3, s[0:1], v9, v3
	v_addc_co_u32_e64 v4, s[0:1], v8, v4, s[0:1]
	ds_write_b64 v5, v[3:4]
.LBB11_20:
	s_or_b64 exec, exec, s[4:5]
	v_mov_b32_e32 v3, 0
	v_mov_b32_e32 v4, 0
	v_cmp_lt_u32_e64 s[0:1], 63, v0
	s_waitcnt lgkmcnt(0)
	s_barrier
	s_and_saveexec_b64 s[4:5], s[0:1]
; %bb.21:
	v_lshl_add_u32 v0, v7, 3, -8
	ds_read_b64 v[3:4], v0
; %bb.22:
	s_or_b64 exec, exec, s[4:5]
	s_waitcnt lgkmcnt(0)
	v_add_co_u32_e64 v0, s[0:1], v3, v1
	v_addc_co_u32_e64 v1, s[0:1], v4, v2, s[0:1]
	v_add_u32_e32 v2, -1, v6
	v_and_b32_e32 v7, 64, v6
	v_cmp_lt_i32_e64 s[0:1], v2, v7
	v_cndmask_b32_e64 v2, v2, v6, s[0:1]
	v_lshlrev_b32_e32 v2, 2, v2
	ds_bpermute_b32 v0, v2, v0
	ds_bpermute_b32 v1, v2, v1
	s_and_saveexec_b64 s[0:1], vcc
	s_cbranch_execz .LBB11_24
; %bb.23:
	v_cmp_eq_u32_e32 vcc, 0, v6
	s_waitcnt lgkmcnt(0)
	v_cndmask_b32_e32 v1, v1, v4, vcc
	v_cndmask_b32_e32 v0, v0, v3, vcc
	global_store_dwordx2 v5, v[0:1], s[2:3]
.LBB11_24:
	s_endpgm
	.section	.rodata,"a",@progbits
	.p2align	6, 0x0
	.amdhsa_kernel _ZN7rocprim17ROCPRIM_304000_NS6detail31onesweep_scan_histograms_kernelINS1_34wrapped_radix_sort_onesweep_configINS0_14default_configEiN2at4cuda3cub6detail10OpaqueTypeILi4EEEEEmEEvPT0_
		.amdhsa_group_segment_fixed_size 64
		.amdhsa_private_segment_fixed_size 0
		.amdhsa_kernarg_size 8
		.amdhsa_user_sgpr_count 6
		.amdhsa_user_sgpr_private_segment_buffer 1
		.amdhsa_user_sgpr_dispatch_ptr 0
		.amdhsa_user_sgpr_queue_ptr 0
		.amdhsa_user_sgpr_kernarg_segment_ptr 1
		.amdhsa_user_sgpr_dispatch_id 0
		.amdhsa_user_sgpr_flat_scratch_init 0
		.amdhsa_user_sgpr_private_segment_size 0
		.amdhsa_uses_dynamic_stack 0
		.amdhsa_system_sgpr_private_segment_wavefront_offset 0
		.amdhsa_system_sgpr_workgroup_id_x 1
		.amdhsa_system_sgpr_workgroup_id_y 0
		.amdhsa_system_sgpr_workgroup_id_z 0
		.amdhsa_system_sgpr_workgroup_info 0
		.amdhsa_system_vgpr_workitem_id 0
		.amdhsa_next_free_vgpr 12
		.amdhsa_next_free_sgpr 8
		.amdhsa_reserve_vcc 1
		.amdhsa_reserve_flat_scratch 0
		.amdhsa_float_round_mode_32 0
		.amdhsa_float_round_mode_16_64 0
		.amdhsa_float_denorm_mode_32 3
		.amdhsa_float_denorm_mode_16_64 3
		.amdhsa_dx10_clamp 1
		.amdhsa_ieee_mode 1
		.amdhsa_fp16_overflow 0
		.amdhsa_exception_fp_ieee_invalid_op 0
		.amdhsa_exception_fp_denorm_src 0
		.amdhsa_exception_fp_ieee_div_zero 0
		.amdhsa_exception_fp_ieee_overflow 0
		.amdhsa_exception_fp_ieee_underflow 0
		.amdhsa_exception_fp_ieee_inexact 0
		.amdhsa_exception_int_div_zero 0
	.end_amdhsa_kernel
	.section	.text._ZN7rocprim17ROCPRIM_304000_NS6detail31onesweep_scan_histograms_kernelINS1_34wrapped_radix_sort_onesweep_configINS0_14default_configEiN2at4cuda3cub6detail10OpaqueTypeILi4EEEEEmEEvPT0_,"axG",@progbits,_ZN7rocprim17ROCPRIM_304000_NS6detail31onesweep_scan_histograms_kernelINS1_34wrapped_radix_sort_onesweep_configINS0_14default_configEiN2at4cuda3cub6detail10OpaqueTypeILi4EEEEEmEEvPT0_,comdat
.Lfunc_end11:
	.size	_ZN7rocprim17ROCPRIM_304000_NS6detail31onesweep_scan_histograms_kernelINS1_34wrapped_radix_sort_onesweep_configINS0_14default_configEiN2at4cuda3cub6detail10OpaqueTypeILi4EEEEEmEEvPT0_, .Lfunc_end11-_ZN7rocprim17ROCPRIM_304000_NS6detail31onesweep_scan_histograms_kernelINS1_34wrapped_radix_sort_onesweep_configINS0_14default_configEiN2at4cuda3cub6detail10OpaqueTypeILi4EEEEEmEEvPT0_
                                        ; -- End function
	.set _ZN7rocprim17ROCPRIM_304000_NS6detail31onesweep_scan_histograms_kernelINS1_34wrapped_radix_sort_onesweep_configINS0_14default_configEiN2at4cuda3cub6detail10OpaqueTypeILi4EEEEEmEEvPT0_.num_vgpr, 12
	.set _ZN7rocprim17ROCPRIM_304000_NS6detail31onesweep_scan_histograms_kernelINS1_34wrapped_radix_sort_onesweep_configINS0_14default_configEiN2at4cuda3cub6detail10OpaqueTypeILi4EEEEEmEEvPT0_.num_agpr, 0
	.set _ZN7rocprim17ROCPRIM_304000_NS6detail31onesweep_scan_histograms_kernelINS1_34wrapped_radix_sort_onesweep_configINS0_14default_configEiN2at4cuda3cub6detail10OpaqueTypeILi4EEEEEmEEvPT0_.numbered_sgpr, 8
	.set _ZN7rocprim17ROCPRIM_304000_NS6detail31onesweep_scan_histograms_kernelINS1_34wrapped_radix_sort_onesweep_configINS0_14default_configEiN2at4cuda3cub6detail10OpaqueTypeILi4EEEEEmEEvPT0_.num_named_barrier, 0
	.set _ZN7rocprim17ROCPRIM_304000_NS6detail31onesweep_scan_histograms_kernelINS1_34wrapped_radix_sort_onesweep_configINS0_14default_configEiN2at4cuda3cub6detail10OpaqueTypeILi4EEEEEmEEvPT0_.private_seg_size, 0
	.set _ZN7rocprim17ROCPRIM_304000_NS6detail31onesweep_scan_histograms_kernelINS1_34wrapped_radix_sort_onesweep_configINS0_14default_configEiN2at4cuda3cub6detail10OpaqueTypeILi4EEEEEmEEvPT0_.uses_vcc, 1
	.set _ZN7rocprim17ROCPRIM_304000_NS6detail31onesweep_scan_histograms_kernelINS1_34wrapped_radix_sort_onesweep_configINS0_14default_configEiN2at4cuda3cub6detail10OpaqueTypeILi4EEEEEmEEvPT0_.uses_flat_scratch, 0
	.set _ZN7rocprim17ROCPRIM_304000_NS6detail31onesweep_scan_histograms_kernelINS1_34wrapped_radix_sort_onesweep_configINS0_14default_configEiN2at4cuda3cub6detail10OpaqueTypeILi4EEEEEmEEvPT0_.has_dyn_sized_stack, 0
	.set _ZN7rocprim17ROCPRIM_304000_NS6detail31onesweep_scan_histograms_kernelINS1_34wrapped_radix_sort_onesweep_configINS0_14default_configEiN2at4cuda3cub6detail10OpaqueTypeILi4EEEEEmEEvPT0_.has_recursion, 0
	.set _ZN7rocprim17ROCPRIM_304000_NS6detail31onesweep_scan_histograms_kernelINS1_34wrapped_radix_sort_onesweep_configINS0_14default_configEiN2at4cuda3cub6detail10OpaqueTypeILi4EEEEEmEEvPT0_.has_indirect_call, 0
	.section	.AMDGPU.csdata,"",@progbits
; Kernel info:
; codeLenInByte = 908
; TotalNumSgprs: 12
; NumVgprs: 12
; ScratchSize: 0
; MemoryBound: 0
; FloatMode: 240
; IeeeMode: 1
; LDSByteSize: 64 bytes/workgroup (compile time only)
; SGPRBlocks: 1
; VGPRBlocks: 2
; NumSGPRsForWavesPerEU: 12
; NumVGPRsForWavesPerEU: 12
; Occupancy: 10
; WaveLimiterHint : 0
; COMPUTE_PGM_RSRC2:SCRATCH_EN: 0
; COMPUTE_PGM_RSRC2:USER_SGPR: 6
; COMPUTE_PGM_RSRC2:TRAP_HANDLER: 0
; COMPUTE_PGM_RSRC2:TGID_X_EN: 1
; COMPUTE_PGM_RSRC2:TGID_Y_EN: 0
; COMPUTE_PGM_RSRC2:TGID_Z_EN: 0
; COMPUTE_PGM_RSRC2:TIDIG_COMP_CNT: 0
	.section	.text._ZN7rocprim17ROCPRIM_304000_NS6detail16transform_kernelINS1_24wrapped_transform_configINS0_14default_configEiEEiPKiPiNS0_8identityIiEEEEvT1_mT2_T3_,"axG",@progbits,_ZN7rocprim17ROCPRIM_304000_NS6detail16transform_kernelINS1_24wrapped_transform_configINS0_14default_configEiEEiPKiPiNS0_8identityIiEEEEvT1_mT2_T3_,comdat
	.protected	_ZN7rocprim17ROCPRIM_304000_NS6detail16transform_kernelINS1_24wrapped_transform_configINS0_14default_configEiEEiPKiPiNS0_8identityIiEEEEvT1_mT2_T3_ ; -- Begin function _ZN7rocprim17ROCPRIM_304000_NS6detail16transform_kernelINS1_24wrapped_transform_configINS0_14default_configEiEEiPKiPiNS0_8identityIiEEEEvT1_mT2_T3_
	.globl	_ZN7rocprim17ROCPRIM_304000_NS6detail16transform_kernelINS1_24wrapped_transform_configINS0_14default_configEiEEiPKiPiNS0_8identityIiEEEEvT1_mT2_T3_
	.p2align	8
	.type	_ZN7rocprim17ROCPRIM_304000_NS6detail16transform_kernelINS1_24wrapped_transform_configINS0_14default_configEiEEiPKiPiNS0_8identityIiEEEEvT1_mT2_T3_,@function
_ZN7rocprim17ROCPRIM_304000_NS6detail16transform_kernelINS1_24wrapped_transform_configINS0_14default_configEiEEiPKiPiNS0_8identityIiEEEEvT1_mT2_T3_: ; @_ZN7rocprim17ROCPRIM_304000_NS6detail16transform_kernelINS1_24wrapped_transform_configINS0_14default_configEiEEiPKiPiNS0_8identityIiEEEEvT1_mT2_T3_
; %bb.0:
	s_load_dword s7, s[4:5], 0x20
	s_load_dwordx4 s[0:3], s[4:5], 0x0
	s_load_dwordx2 s[8:9], s[4:5], 0x10
	s_lshl_b32 s10, s6, 11
	s_mov_b32 s11, 0
	s_waitcnt lgkmcnt(0)
	s_add_i32 s7, s7, -1
	s_lshl_b64 s[4:5], s[10:11], 2
	s_add_u32 s0, s0, s4
	s_addc_u32 s1, s1, s5
	v_lshlrev_b32_e32 v5, 2, v0
	v_mov_b32_e32 v2, s1
	v_add_co_u32_e32 v1, vcc, s0, v5
	s_cmp_lg_u32 s6, s7
	v_addc_co_u32_e32 v2, vcc, 0, v2, vcc
	s_cbranch_scc0 .LBB12_2
; %bb.1:
	v_add_co_u32_e32 v3, vcc, 0x1000, v1
	global_load_dword v6, v[1:2], off
	v_addc_co_u32_e32 v4, vcc, 0, v2, vcc
	global_load_dword v3, v[3:4], off
	s_add_u32 s0, s8, s4
	s_addc_u32 s1, s9, s5
	s_mov_b64 s[6:7], -1
	s_waitcnt vmcnt(1)
	global_store_dword v5, v6, s[0:1]
	s_cbranch_execz .LBB12_3
	s_branch .LBB12_10
.LBB12_2:
	s_mov_b64 s[6:7], 0
                                        ; implicit-def: $vgpr3
.LBB12_3:
	s_sub_i32 s10, s2, s10
	s_waitcnt vmcnt(1)
	v_mov_b32_e32 v3, 0
	v_cmp_gt_u32_e64 s[0:1], s10, v0
	v_mov_b32_e32 v4, v3
	s_and_saveexec_b64 s[2:3], s[0:1]
	s_cbranch_execz .LBB12_5
; %bb.4:
	global_load_dword v6, v[1:2], off
	v_mov_b32_e32 v7, v3
	s_waitcnt vmcnt(0)
	v_mov_b32_e32 v3, v6
	v_mov_b32_e32 v4, v7
.LBB12_5:
	s_or_b64 exec, exec, s[2:3]
	v_or_b32_e32 v0, 0x400, v0
	v_cmp_gt_u32_e64 s[2:3], s10, v0
	s_and_saveexec_b64 s[10:11], s[2:3]
	s_cbranch_execnz .LBB12_13
; %bb.6:
	s_or_b64 exec, exec, s[10:11]
	v_cndmask_b32_e64 v0, 0, v3, s[0:1]
	s_and_saveexec_b64 s[10:11], s[0:1]
	s_cbranch_execnz .LBB12_14
.LBB12_7:
	s_or_b64 exec, exec, s[10:11]
                                        ; implicit-def: $vgpr3
	s_and_saveexec_b64 s[0:1], s[2:3]
	s_cbranch_execz .LBB12_9
.LBB12_8:
	s_waitcnt vmcnt(0)
	v_cndmask_b32_e64 v3, 0, v4, s[2:3]
	s_or_b64 s[6:7], s[6:7], exec
.LBB12_9:
	s_or_b64 exec, exec, s[0:1]
.LBB12_10:
	s_and_saveexec_b64 s[0:1], s[6:7]
	s_cbranch_execnz .LBB12_12
; %bb.11:
	s_endpgm
.LBB12_12:
	s_add_u32 s0, s8, s4
	s_addc_u32 s1, s9, s5
	v_mov_b32_e32 v0, s1
	v_add_co_u32_e32 v1, vcc, s0, v5
	v_addc_co_u32_e32 v2, vcc, 0, v0, vcc
	v_add_co_u32_e32 v0, vcc, 0x1000, v1
	v_addc_co_u32_e32 v1, vcc, 0, v2, vcc
	s_waitcnt vmcnt(1)
	global_store_dword v[0:1], v3, off
	s_endpgm
.LBB12_13:
	v_add_co_u32_e32 v0, vcc, 0x1000, v1
	v_addc_co_u32_e32 v1, vcc, 0, v2, vcc
	global_load_dword v4, v[0:1], off
	s_or_b64 exec, exec, s[10:11]
	v_cndmask_b32_e64 v0, 0, v3, s[0:1]
	s_and_saveexec_b64 s[10:11], s[0:1]
	s_cbranch_execz .LBB12_7
.LBB12_14:
	s_add_u32 s0, s8, s4
	s_addc_u32 s1, s9, s5
	global_store_dword v5, v0, s[0:1]
	s_or_b64 exec, exec, s[10:11]
                                        ; implicit-def: $vgpr3
	s_and_saveexec_b64 s[0:1], s[2:3]
	s_cbranch_execnz .LBB12_8
	s_branch .LBB12_9
	.section	.rodata,"a",@progbits
	.p2align	6, 0x0
	.amdhsa_kernel _ZN7rocprim17ROCPRIM_304000_NS6detail16transform_kernelINS1_24wrapped_transform_configINS0_14default_configEiEEiPKiPiNS0_8identityIiEEEEvT1_mT2_T3_
		.amdhsa_group_segment_fixed_size 0
		.amdhsa_private_segment_fixed_size 0
		.amdhsa_kernarg_size 288
		.amdhsa_user_sgpr_count 6
		.amdhsa_user_sgpr_private_segment_buffer 1
		.amdhsa_user_sgpr_dispatch_ptr 0
		.amdhsa_user_sgpr_queue_ptr 0
		.amdhsa_user_sgpr_kernarg_segment_ptr 1
		.amdhsa_user_sgpr_dispatch_id 0
		.amdhsa_user_sgpr_flat_scratch_init 0
		.amdhsa_user_sgpr_private_segment_size 0
		.amdhsa_uses_dynamic_stack 0
		.amdhsa_system_sgpr_private_segment_wavefront_offset 0
		.amdhsa_system_sgpr_workgroup_id_x 1
		.amdhsa_system_sgpr_workgroup_id_y 0
		.amdhsa_system_sgpr_workgroup_id_z 0
		.amdhsa_system_sgpr_workgroup_info 0
		.amdhsa_system_vgpr_workitem_id 0
		.amdhsa_next_free_vgpr 8
		.amdhsa_next_free_sgpr 12
		.amdhsa_reserve_vcc 1
		.amdhsa_reserve_flat_scratch 0
		.amdhsa_float_round_mode_32 0
		.amdhsa_float_round_mode_16_64 0
		.amdhsa_float_denorm_mode_32 3
		.amdhsa_float_denorm_mode_16_64 3
		.amdhsa_dx10_clamp 1
		.amdhsa_ieee_mode 1
		.amdhsa_fp16_overflow 0
		.amdhsa_exception_fp_ieee_invalid_op 0
		.amdhsa_exception_fp_denorm_src 0
		.amdhsa_exception_fp_ieee_div_zero 0
		.amdhsa_exception_fp_ieee_overflow 0
		.amdhsa_exception_fp_ieee_underflow 0
		.amdhsa_exception_fp_ieee_inexact 0
		.amdhsa_exception_int_div_zero 0
	.end_amdhsa_kernel
	.section	.text._ZN7rocprim17ROCPRIM_304000_NS6detail16transform_kernelINS1_24wrapped_transform_configINS0_14default_configEiEEiPKiPiNS0_8identityIiEEEEvT1_mT2_T3_,"axG",@progbits,_ZN7rocprim17ROCPRIM_304000_NS6detail16transform_kernelINS1_24wrapped_transform_configINS0_14default_configEiEEiPKiPiNS0_8identityIiEEEEvT1_mT2_T3_,comdat
.Lfunc_end12:
	.size	_ZN7rocprim17ROCPRIM_304000_NS6detail16transform_kernelINS1_24wrapped_transform_configINS0_14default_configEiEEiPKiPiNS0_8identityIiEEEEvT1_mT2_T3_, .Lfunc_end12-_ZN7rocprim17ROCPRIM_304000_NS6detail16transform_kernelINS1_24wrapped_transform_configINS0_14default_configEiEEiPKiPiNS0_8identityIiEEEEvT1_mT2_T3_
                                        ; -- End function
	.set _ZN7rocprim17ROCPRIM_304000_NS6detail16transform_kernelINS1_24wrapped_transform_configINS0_14default_configEiEEiPKiPiNS0_8identityIiEEEEvT1_mT2_T3_.num_vgpr, 8
	.set _ZN7rocprim17ROCPRIM_304000_NS6detail16transform_kernelINS1_24wrapped_transform_configINS0_14default_configEiEEiPKiPiNS0_8identityIiEEEEvT1_mT2_T3_.num_agpr, 0
	.set _ZN7rocprim17ROCPRIM_304000_NS6detail16transform_kernelINS1_24wrapped_transform_configINS0_14default_configEiEEiPKiPiNS0_8identityIiEEEEvT1_mT2_T3_.numbered_sgpr, 12
	.set _ZN7rocprim17ROCPRIM_304000_NS6detail16transform_kernelINS1_24wrapped_transform_configINS0_14default_configEiEEiPKiPiNS0_8identityIiEEEEvT1_mT2_T3_.num_named_barrier, 0
	.set _ZN7rocprim17ROCPRIM_304000_NS6detail16transform_kernelINS1_24wrapped_transform_configINS0_14default_configEiEEiPKiPiNS0_8identityIiEEEEvT1_mT2_T3_.private_seg_size, 0
	.set _ZN7rocprim17ROCPRIM_304000_NS6detail16transform_kernelINS1_24wrapped_transform_configINS0_14default_configEiEEiPKiPiNS0_8identityIiEEEEvT1_mT2_T3_.uses_vcc, 1
	.set _ZN7rocprim17ROCPRIM_304000_NS6detail16transform_kernelINS1_24wrapped_transform_configINS0_14default_configEiEEiPKiPiNS0_8identityIiEEEEvT1_mT2_T3_.uses_flat_scratch, 0
	.set _ZN7rocprim17ROCPRIM_304000_NS6detail16transform_kernelINS1_24wrapped_transform_configINS0_14default_configEiEEiPKiPiNS0_8identityIiEEEEvT1_mT2_T3_.has_dyn_sized_stack, 0
	.set _ZN7rocprim17ROCPRIM_304000_NS6detail16transform_kernelINS1_24wrapped_transform_configINS0_14default_configEiEEiPKiPiNS0_8identityIiEEEEvT1_mT2_T3_.has_recursion, 0
	.set _ZN7rocprim17ROCPRIM_304000_NS6detail16transform_kernelINS1_24wrapped_transform_configINS0_14default_configEiEEiPKiPiNS0_8identityIiEEEEvT1_mT2_T3_.has_indirect_call, 0
	.section	.AMDGPU.csdata,"",@progbits
; Kernel info:
; codeLenInByte = 408
; TotalNumSgprs: 16
; NumVgprs: 8
; ScratchSize: 0
; MemoryBound: 0
; FloatMode: 240
; IeeeMode: 1
; LDSByteSize: 0 bytes/workgroup (compile time only)
; SGPRBlocks: 1
; VGPRBlocks: 1
; NumSGPRsForWavesPerEU: 16
; NumVGPRsForWavesPerEU: 8
; Occupancy: 10
; WaveLimiterHint : 1
; COMPUTE_PGM_RSRC2:SCRATCH_EN: 0
; COMPUTE_PGM_RSRC2:USER_SGPR: 6
; COMPUTE_PGM_RSRC2:TRAP_HANDLER: 0
; COMPUTE_PGM_RSRC2:TGID_X_EN: 1
; COMPUTE_PGM_RSRC2:TGID_Y_EN: 0
; COMPUTE_PGM_RSRC2:TGID_Z_EN: 0
; COMPUTE_PGM_RSRC2:TIDIG_COMP_CNT: 0
	.section	.text._ZN7rocprim17ROCPRIM_304000_NS6detail16transform_kernelINS1_24wrapped_transform_configINS0_14default_configEN2at4cuda3cub6detail10OpaqueTypeILi4EEEEESA_PKSA_PSA_NS0_8identityISA_EEEEvT1_mT2_T3_,"axG",@progbits,_ZN7rocprim17ROCPRIM_304000_NS6detail16transform_kernelINS1_24wrapped_transform_configINS0_14default_configEN2at4cuda3cub6detail10OpaqueTypeILi4EEEEESA_PKSA_PSA_NS0_8identityISA_EEEEvT1_mT2_T3_,comdat
	.protected	_ZN7rocprim17ROCPRIM_304000_NS6detail16transform_kernelINS1_24wrapped_transform_configINS0_14default_configEN2at4cuda3cub6detail10OpaqueTypeILi4EEEEESA_PKSA_PSA_NS0_8identityISA_EEEEvT1_mT2_T3_ ; -- Begin function _ZN7rocprim17ROCPRIM_304000_NS6detail16transform_kernelINS1_24wrapped_transform_configINS0_14default_configEN2at4cuda3cub6detail10OpaqueTypeILi4EEEEESA_PKSA_PSA_NS0_8identityISA_EEEEvT1_mT2_T3_
	.globl	_ZN7rocprim17ROCPRIM_304000_NS6detail16transform_kernelINS1_24wrapped_transform_configINS0_14default_configEN2at4cuda3cub6detail10OpaqueTypeILi4EEEEESA_PKSA_PSA_NS0_8identityISA_EEEEvT1_mT2_T3_
	.p2align	8
	.type	_ZN7rocprim17ROCPRIM_304000_NS6detail16transform_kernelINS1_24wrapped_transform_configINS0_14default_configEN2at4cuda3cub6detail10OpaqueTypeILi4EEEEESA_PKSA_PSA_NS0_8identityISA_EEEEvT1_mT2_T3_,@function
_ZN7rocprim17ROCPRIM_304000_NS6detail16transform_kernelINS1_24wrapped_transform_configINS0_14default_configEN2at4cuda3cub6detail10OpaqueTypeILi4EEEEESA_PKSA_PSA_NS0_8identityISA_EEEEvT1_mT2_T3_: ; @_ZN7rocprim17ROCPRIM_304000_NS6detail16transform_kernelINS1_24wrapped_transform_configINS0_14default_configEN2at4cuda3cub6detail10OpaqueTypeILi4EEEEESA_PKSA_PSA_NS0_8identityISA_EEEEvT1_mT2_T3_
; %bb.0:
	s_load_dword s7, s[4:5], 0x20
	s_load_dwordx4 s[0:3], s[4:5], 0x0
	s_load_dwordx2 s[8:9], s[4:5], 0x10
	s_lshl_b32 s10, s6, 11
	s_mov_b32 s11, 0
	s_waitcnt lgkmcnt(0)
	s_add_i32 s7, s7, -1
	s_lshl_b64 s[4:5], s[10:11], 2
	s_add_u32 s0, s0, s4
	s_addc_u32 s1, s1, s5
	v_lshlrev_b32_e32 v3, 2, v0
	v_mov_b32_e32 v2, s1
	v_add_co_u32_e32 v1, vcc, s0, v3
	s_cmp_lg_u32 s6, s7
	v_addc_co_u32_e32 v2, vcc, 0, v2, vcc
	s_cbranch_scc0 .LBB13_2
; %bb.1:
	v_add_co_u32_e32 v4, vcc, 0x1000, v1
	global_load_dword v6, v[1:2], off
	v_addc_co_u32_e32 v5, vcc, 0, v2, vcc
	global_load_dword v4, v[4:5], off
	s_add_u32 s0, s8, s4
	s_addc_u32 s1, s9, s5
	s_mov_b64 s[6:7], -1
	s_waitcnt vmcnt(1)
	global_store_dword v3, v6, s[0:1]
	s_cbranch_execz .LBB13_3
	s_branch .LBB13_10
.LBB13_2:
	s_mov_b64 s[6:7], 0
                                        ; implicit-def: $vgpr4
.LBB13_3:
	s_sub_i32 s6, s2, s10
	v_cmp_gt_u32_e64 s[0:1], s6, v0
                                        ; implicit-def: $vgpr5
	s_and_saveexec_b64 s[2:3], s[0:1]
	s_cbranch_execz .LBB13_5
; %bb.4:
	global_load_dword v5, v[1:2], off
.LBB13_5:
	s_or_b64 exec, exec, s[2:3]
	v_or_b32_e32 v0, 0x400, v0
	v_cmp_gt_u32_e64 s[6:7], s6, v0
                                        ; implicit-def: $vgpr4
	s_and_saveexec_b64 s[2:3], s[6:7]
	s_cbranch_execz .LBB13_7
; %bb.6:
	v_add_co_u32_e32 v0, vcc, 0x1000, v1
	v_addc_co_u32_e32 v1, vcc, 0, v2, vcc
	global_load_dword v4, v[0:1], off
.LBB13_7:
	s_or_b64 exec, exec, s[2:3]
	s_and_saveexec_b64 s[2:3], s[0:1]
	s_cbranch_execz .LBB13_9
; %bb.8:
	s_add_u32 s0, s8, s4
	s_addc_u32 s1, s9, s5
	s_waitcnt vmcnt(0)
	global_store_dword v3, v5, s[0:1]
.LBB13_9:
	s_or_b64 exec, exec, s[2:3]
.LBB13_10:
	s_and_saveexec_b64 s[0:1], s[6:7]
	s_cbranch_execnz .LBB13_12
; %bb.11:
	s_endpgm
.LBB13_12:
	s_add_u32 s0, s8, s4
	s_addc_u32 s1, s9, s5
	v_mov_b32_e32 v0, s1
	v_add_co_u32_e32 v1, vcc, s0, v3
	v_addc_co_u32_e32 v2, vcc, 0, v0, vcc
	v_add_co_u32_e32 v0, vcc, 0x1000, v1
	v_addc_co_u32_e32 v1, vcc, 0, v2, vcc
	s_waitcnt vmcnt(0)
	global_store_dword v[0:1], v4, off
	s_endpgm
	.section	.rodata,"a",@progbits
	.p2align	6, 0x0
	.amdhsa_kernel _ZN7rocprim17ROCPRIM_304000_NS6detail16transform_kernelINS1_24wrapped_transform_configINS0_14default_configEN2at4cuda3cub6detail10OpaqueTypeILi4EEEEESA_PKSA_PSA_NS0_8identityISA_EEEEvT1_mT2_T3_
		.amdhsa_group_segment_fixed_size 0
		.amdhsa_private_segment_fixed_size 0
		.amdhsa_kernarg_size 288
		.amdhsa_user_sgpr_count 6
		.amdhsa_user_sgpr_private_segment_buffer 1
		.amdhsa_user_sgpr_dispatch_ptr 0
		.amdhsa_user_sgpr_queue_ptr 0
		.amdhsa_user_sgpr_kernarg_segment_ptr 1
		.amdhsa_user_sgpr_dispatch_id 0
		.amdhsa_user_sgpr_flat_scratch_init 0
		.amdhsa_user_sgpr_private_segment_size 0
		.amdhsa_uses_dynamic_stack 0
		.amdhsa_system_sgpr_private_segment_wavefront_offset 0
		.amdhsa_system_sgpr_workgroup_id_x 1
		.amdhsa_system_sgpr_workgroup_id_y 0
		.amdhsa_system_sgpr_workgroup_id_z 0
		.amdhsa_system_sgpr_workgroup_info 0
		.amdhsa_system_vgpr_workitem_id 0
		.amdhsa_next_free_vgpr 7
		.amdhsa_next_free_sgpr 12
		.amdhsa_reserve_vcc 1
		.amdhsa_reserve_flat_scratch 0
		.amdhsa_float_round_mode_32 0
		.amdhsa_float_round_mode_16_64 0
		.amdhsa_float_denorm_mode_32 3
		.amdhsa_float_denorm_mode_16_64 3
		.amdhsa_dx10_clamp 1
		.amdhsa_ieee_mode 1
		.amdhsa_fp16_overflow 0
		.amdhsa_exception_fp_ieee_invalid_op 0
		.amdhsa_exception_fp_denorm_src 0
		.amdhsa_exception_fp_ieee_div_zero 0
		.amdhsa_exception_fp_ieee_overflow 0
		.amdhsa_exception_fp_ieee_underflow 0
		.amdhsa_exception_fp_ieee_inexact 0
		.amdhsa_exception_int_div_zero 0
	.end_amdhsa_kernel
	.section	.text._ZN7rocprim17ROCPRIM_304000_NS6detail16transform_kernelINS1_24wrapped_transform_configINS0_14default_configEN2at4cuda3cub6detail10OpaqueTypeILi4EEEEESA_PKSA_PSA_NS0_8identityISA_EEEEvT1_mT2_T3_,"axG",@progbits,_ZN7rocprim17ROCPRIM_304000_NS6detail16transform_kernelINS1_24wrapped_transform_configINS0_14default_configEN2at4cuda3cub6detail10OpaqueTypeILi4EEEEESA_PKSA_PSA_NS0_8identityISA_EEEEvT1_mT2_T3_,comdat
.Lfunc_end13:
	.size	_ZN7rocprim17ROCPRIM_304000_NS6detail16transform_kernelINS1_24wrapped_transform_configINS0_14default_configEN2at4cuda3cub6detail10OpaqueTypeILi4EEEEESA_PKSA_PSA_NS0_8identityISA_EEEEvT1_mT2_T3_, .Lfunc_end13-_ZN7rocprim17ROCPRIM_304000_NS6detail16transform_kernelINS1_24wrapped_transform_configINS0_14default_configEN2at4cuda3cub6detail10OpaqueTypeILi4EEEEESA_PKSA_PSA_NS0_8identityISA_EEEEvT1_mT2_T3_
                                        ; -- End function
	.set _ZN7rocprim17ROCPRIM_304000_NS6detail16transform_kernelINS1_24wrapped_transform_configINS0_14default_configEN2at4cuda3cub6detail10OpaqueTypeILi4EEEEESA_PKSA_PSA_NS0_8identityISA_EEEEvT1_mT2_T3_.num_vgpr, 7
	.set _ZN7rocprim17ROCPRIM_304000_NS6detail16transform_kernelINS1_24wrapped_transform_configINS0_14default_configEN2at4cuda3cub6detail10OpaqueTypeILi4EEEEESA_PKSA_PSA_NS0_8identityISA_EEEEvT1_mT2_T3_.num_agpr, 0
	.set _ZN7rocprim17ROCPRIM_304000_NS6detail16transform_kernelINS1_24wrapped_transform_configINS0_14default_configEN2at4cuda3cub6detail10OpaqueTypeILi4EEEEESA_PKSA_PSA_NS0_8identityISA_EEEEvT1_mT2_T3_.numbered_sgpr, 12
	.set _ZN7rocprim17ROCPRIM_304000_NS6detail16transform_kernelINS1_24wrapped_transform_configINS0_14default_configEN2at4cuda3cub6detail10OpaqueTypeILi4EEEEESA_PKSA_PSA_NS0_8identityISA_EEEEvT1_mT2_T3_.num_named_barrier, 0
	.set _ZN7rocprim17ROCPRIM_304000_NS6detail16transform_kernelINS1_24wrapped_transform_configINS0_14default_configEN2at4cuda3cub6detail10OpaqueTypeILi4EEEEESA_PKSA_PSA_NS0_8identityISA_EEEEvT1_mT2_T3_.private_seg_size, 0
	.set _ZN7rocprim17ROCPRIM_304000_NS6detail16transform_kernelINS1_24wrapped_transform_configINS0_14default_configEN2at4cuda3cub6detail10OpaqueTypeILi4EEEEESA_PKSA_PSA_NS0_8identityISA_EEEEvT1_mT2_T3_.uses_vcc, 1
	.set _ZN7rocprim17ROCPRIM_304000_NS6detail16transform_kernelINS1_24wrapped_transform_configINS0_14default_configEN2at4cuda3cub6detail10OpaqueTypeILi4EEEEESA_PKSA_PSA_NS0_8identityISA_EEEEvT1_mT2_T3_.uses_flat_scratch, 0
	.set _ZN7rocprim17ROCPRIM_304000_NS6detail16transform_kernelINS1_24wrapped_transform_configINS0_14default_configEN2at4cuda3cub6detail10OpaqueTypeILi4EEEEESA_PKSA_PSA_NS0_8identityISA_EEEEvT1_mT2_T3_.has_dyn_sized_stack, 0
	.set _ZN7rocprim17ROCPRIM_304000_NS6detail16transform_kernelINS1_24wrapped_transform_configINS0_14default_configEN2at4cuda3cub6detail10OpaqueTypeILi4EEEEESA_PKSA_PSA_NS0_8identityISA_EEEEvT1_mT2_T3_.has_recursion, 0
	.set _ZN7rocprim17ROCPRIM_304000_NS6detail16transform_kernelINS1_24wrapped_transform_configINS0_14default_configEN2at4cuda3cub6detail10OpaqueTypeILi4EEEEESA_PKSA_PSA_NS0_8identityISA_EEEEvT1_mT2_T3_.has_indirect_call, 0
	.section	.AMDGPU.csdata,"",@progbits
; Kernel info:
; codeLenInByte = 312
; TotalNumSgprs: 16
; NumVgprs: 7
; ScratchSize: 0
; MemoryBound: 0
; FloatMode: 240
; IeeeMode: 1
; LDSByteSize: 0 bytes/workgroup (compile time only)
; SGPRBlocks: 1
; VGPRBlocks: 1
; NumSGPRsForWavesPerEU: 16
; NumVGPRsForWavesPerEU: 7
; Occupancy: 10
; WaveLimiterHint : 1
; COMPUTE_PGM_RSRC2:SCRATCH_EN: 0
; COMPUTE_PGM_RSRC2:USER_SGPR: 6
; COMPUTE_PGM_RSRC2:TRAP_HANDLER: 0
; COMPUTE_PGM_RSRC2:TGID_X_EN: 1
; COMPUTE_PGM_RSRC2:TGID_Y_EN: 0
; COMPUTE_PGM_RSRC2:TGID_Z_EN: 0
; COMPUTE_PGM_RSRC2:TIDIG_COMP_CNT: 0
	.section	.text._ZN7rocprim17ROCPRIM_304000_NS6detail25onesweep_iteration_kernelINS1_34wrapped_radix_sort_onesweep_configINS0_14default_configEiN2at4cuda3cub6detail10OpaqueTypeILi4EEEEELb1EPKiPiPKSA_PSA_mNS0_19identity_decomposerEEEvT1_T2_T3_T4_jPT5_SO_PNS1_23onesweep_lookback_stateET6_jjj,"axG",@progbits,_ZN7rocprim17ROCPRIM_304000_NS6detail25onesweep_iteration_kernelINS1_34wrapped_radix_sort_onesweep_configINS0_14default_configEiN2at4cuda3cub6detail10OpaqueTypeILi4EEEEELb1EPKiPiPKSA_PSA_mNS0_19identity_decomposerEEEvT1_T2_T3_T4_jPT5_SO_PNS1_23onesweep_lookback_stateET6_jjj,comdat
	.protected	_ZN7rocprim17ROCPRIM_304000_NS6detail25onesweep_iteration_kernelINS1_34wrapped_radix_sort_onesweep_configINS0_14default_configEiN2at4cuda3cub6detail10OpaqueTypeILi4EEEEELb1EPKiPiPKSA_PSA_mNS0_19identity_decomposerEEEvT1_T2_T3_T4_jPT5_SO_PNS1_23onesweep_lookback_stateET6_jjj ; -- Begin function _ZN7rocprim17ROCPRIM_304000_NS6detail25onesweep_iteration_kernelINS1_34wrapped_radix_sort_onesweep_configINS0_14default_configEiN2at4cuda3cub6detail10OpaqueTypeILi4EEEEELb1EPKiPiPKSA_PSA_mNS0_19identity_decomposerEEEvT1_T2_T3_T4_jPT5_SO_PNS1_23onesweep_lookback_stateET6_jjj
	.globl	_ZN7rocprim17ROCPRIM_304000_NS6detail25onesweep_iteration_kernelINS1_34wrapped_radix_sort_onesweep_configINS0_14default_configEiN2at4cuda3cub6detail10OpaqueTypeILi4EEEEELb1EPKiPiPKSA_PSA_mNS0_19identity_decomposerEEEvT1_T2_T3_T4_jPT5_SO_PNS1_23onesweep_lookback_stateET6_jjj
	.p2align	8
	.type	_ZN7rocprim17ROCPRIM_304000_NS6detail25onesweep_iteration_kernelINS1_34wrapped_radix_sort_onesweep_configINS0_14default_configEiN2at4cuda3cub6detail10OpaqueTypeILi4EEEEELb1EPKiPiPKSA_PSA_mNS0_19identity_decomposerEEEvT1_T2_T3_T4_jPT5_SO_PNS1_23onesweep_lookback_stateET6_jjj,@function
_ZN7rocprim17ROCPRIM_304000_NS6detail25onesweep_iteration_kernelINS1_34wrapped_radix_sort_onesweep_configINS0_14default_configEiN2at4cuda3cub6detail10OpaqueTypeILi4EEEEELb1EPKiPiPKSA_PSA_mNS0_19identity_decomposerEEEvT1_T2_T3_T4_jPT5_SO_PNS1_23onesweep_lookback_stateET6_jjj: ; @_ZN7rocprim17ROCPRIM_304000_NS6detail25onesweep_iteration_kernelINS1_34wrapped_radix_sort_onesweep_configINS0_14default_configEiN2at4cuda3cub6detail10OpaqueTypeILi4EEEEELb1EPKiPiPKSA_PSA_mNS0_19identity_decomposerEEEvT1_T2_T3_T4_jPT5_SO_PNS1_23onesweep_lookback_stateET6_jjj
; %bb.0:
	s_load_dwordx4 s[68:71], s[4:5], 0x44
	s_load_dwordx8 s[56:63], s[4:5], 0x0
	s_load_dwordx4 s[64:67], s[4:5], 0x28
	s_load_dwordx2 s[72:73], s[4:5], 0x38
	s_mov_b64 s[0:1], -1
	s_waitcnt lgkmcnt(0)
	s_cmp_ge_u32 s6, s70
	s_mul_i32 s74, s6, 0x1800
	v_mbcnt_lo_u32_b32 v11, -1, 0
	s_cbranch_scc0 .LBB14_168
; %bb.1:
	s_load_dword s0, s[4:5], 0x20
	s_mul_i32 s1, s70, 0xffffe800
	s_mov_b32 s75, 0
	s_lshl_b64 s[70:71], s[74:75], 2
	v_mbcnt_hi_u32_b32 v6, -1, v11
	s_waitcnt lgkmcnt(0)
	s_add_i32 s75, s1, s0
	s_add_u32 s0, s56, s70
	s_addc_u32 s1, s57, s71
	v_and_b32_e32 v23, 0x1c0, v0
	v_lshlrev_b32_e32 v13, 2, v6
	v_mul_u32_u24_e32 v5, 12, v23
	v_mov_b32_e32 v3, s1
	v_add_co_u32_e32 v4, vcc, s0, v13
	v_addc_co_u32_e32 v8, vcc, 0, v3, vcc
	v_lshlrev_b32_e32 v14, 2, v5
	v_add_co_u32_e32 v3, vcc, v4, v14
	v_addc_co_u32_e32 v4, vcc, 0, v8, vcc
	v_or_b32_e32 v5, v6, v5
	v_mov_b32_e32 v7, -1
	v_cmp_gt_u32_e32 vcc, s75, v5
	v_mov_b32_e32 v8, -1
	s_and_saveexec_b64 s[0:1], vcc
	s_cbranch_execz .LBB14_3
; %bb.2:
	global_load_dword v8, v[3:4], off
	s_waitcnt vmcnt(0)
	v_xor_b32_e32 v8, 0x7fffffff, v8
.LBB14_3:
	s_or_b64 exec, exec, s[0:1]
	v_add_u32_e32 v9, 64, v5
	v_cmp_gt_u32_e64 s[0:1], s75, v9
	s_and_saveexec_b64 s[2:3], s[0:1]
	s_cbranch_execz .LBB14_5
; %bb.4:
	global_load_dword v7, v[3:4], off offset:256
	s_waitcnt vmcnt(0)
	v_xor_b32_e32 v7, 0x7fffffff, v7
.LBB14_5:
	s_or_b64 exec, exec, s[2:3]
	v_add_u32_e32 v9, 0x80, v5
	v_cmp_gt_u32_e64 s[2:3], s75, v9
	v_mov_b32_e32 v9, -1
	v_mov_b32_e32 v10, -1
	s_and_saveexec_b64 s[8:9], s[2:3]
	s_cbranch_execz .LBB14_7
; %bb.6:
	global_load_dword v10, v[3:4], off offset:512
	s_waitcnt vmcnt(0)
	v_xor_b32_e32 v10, 0x7fffffff, v10
.LBB14_7:
	s_or_b64 exec, exec, s[8:9]
	v_add_u32_e32 v12, 0xc0, v5
	v_cmp_gt_u32_e64 s[52:53], s75, v12
	s_and_saveexec_b64 s[8:9], s[52:53]
	s_cbranch_execz .LBB14_9
; %bb.8:
	global_load_dword v9, v[3:4], off offset:768
	s_waitcnt vmcnt(0)
	v_xor_b32_e32 v9, 0x7fffffff, v9
.LBB14_9:
	s_or_b64 exec, exec, s[8:9]
	v_add_u32_e32 v12, 0x100, v5
	v_cmp_gt_u32_e64 s[8:9], s75, v12
	v_mov_b32_e32 v15, -1
	v_mov_b32_e32 v16, -1
	s_and_saveexec_b64 s[10:11], s[8:9]
	s_cbranch_execz .LBB14_11
; %bb.10:
	global_load_dword v12, v[3:4], off offset:1024
	s_waitcnt vmcnt(0)
	v_xor_b32_e32 v16, 0x7fffffff, v12
.LBB14_11:
	;; [unrolled: 22-line block ×5, first 2 shown]
	s_or_b64 exec, exec, s[22:23]
	v_add_u32_e32 v5, 0x2c0, v5
	v_cmp_gt_u32_e64 s[22:23], s75, v5
	s_and_saveexec_b64 s[24:25], s[22:23]
	s_cbranch_execz .LBB14_25
; %bb.24:
	global_load_dword v3, v[3:4], off offset:2816
	s_waitcnt vmcnt(0)
	v_xor_b32_e32 v21, 0x7fffffff, v3
.LBB14_25:
	s_or_b64 exec, exec, s[24:25]
	s_load_dword s24, s[4:5], 0x5c
	s_load_dword s7, s[4:5], 0x50
	s_add_u32 s25, s4, 0x50
	s_addc_u32 s26, s5, 0
	v_mov_b32_e32 v3, 0
	s_waitcnt lgkmcnt(0)
	s_lshr_b32 s27, s24, 16
	s_cmp_lt_u32 s6, s7
	s_cselect_b32 s24, 12, 18
	s_add_u32 s24, s25, s24
	s_addc_u32 s25, s26, 0
	global_load_ushort v24, v3, s[24:25]
	s_lshl_b32 s24, -1, s69
	v_lshrrev_b32_e32 v4, s68, v8
	s_not_b32 s33, s24
	v_and_b32_e32 v5, s33, v4
	v_and_b32_e32 v26, 1, v5
	v_add_co_u32_e64 v28, s[24:25], -1, v26
	v_lshlrev_b32_e32 v4, 30, v5
	v_addc_co_u32_e64 v29, s[24:25], 0, -1, s[24:25]
	v_mad_u32_u24 v25, v2, s27, v1
	v_cmp_ne_u32_e64 s[24:25], 0, v26
	v_cmp_gt_i64_e64 s[26:27], 0, v[3:4]
	v_not_b32_e32 v26, v4
	v_lshlrev_b32_e32 v4, 29, v5
	v_xor_b32_e32 v29, s25, v29
	v_xor_b32_e32 v28, s24, v28
	v_ashrrev_i32_e32 v26, 31, v26
	v_cmp_gt_i64_e64 s[24:25], 0, v[3:4]
	v_not_b32_e32 v30, v4
	v_lshlrev_b32_e32 v4, 28, v5
	v_and_b32_e32 v29, exec_hi, v29
	v_and_b32_e32 v28, exec_lo, v28
	v_xor_b32_e32 v31, s27, v26
	v_xor_b32_e32 v26, s26, v26
	v_ashrrev_i32_e32 v30, 31, v30
	v_cmp_gt_i64_e64 s[26:27], 0, v[3:4]
	v_not_b32_e32 v32, v4
	v_lshlrev_b32_e32 v4, 27, v5
	v_mul_lo_u32 v27, v5, 36
	v_and_b32_e32 v5, v29, v31
	v_and_b32_e32 v26, v28, v26
	v_xor_b32_e32 v28, s25, v30
	v_xor_b32_e32 v29, s24, v30
	v_ashrrev_i32_e32 v30, 31, v32
	v_cmp_gt_i64_e64 s[24:25], 0, v[3:4]
	v_not_b32_e32 v4, v4
	v_and_b32_e32 v5, v5, v28
	v_and_b32_e32 v26, v26, v29
	v_xor_b32_e32 v28, s27, v30
	v_xor_b32_e32 v29, s26, v30
	v_ashrrev_i32_e32 v4, 31, v4
	v_and_b32_e32 v5, v5, v28
	v_and_b32_e32 v26, v26, v29
	v_xor_b32_e32 v28, s25, v4
	v_xor_b32_e32 v4, s24, v4
	v_and_b32_e32 v4, v26, v4
	v_and_b32_e32 v5, v5, v28
	v_mbcnt_lo_u32_b32 v28, v4, 0
	v_lshlrev_b32_e32 v12, 2, v0
	ds_write_b32 v12, v3 offset:32
	s_waitcnt vmcnt(0) lgkmcnt(0)
	s_barrier
	; wave barrier
	v_mad_u64_u32 v[25:26], s[24:25], v25, v24, v[0:1]
	v_cmp_ne_u64_e64 s[24:25], 0, v[4:5]
	v_mbcnt_hi_u32_b32 v24, v5, v28
	v_cmp_eq_u32_e64 s[26:27], 0, v24
	v_lshrrev_b32_e32 v33, 6, v25
	v_lshl_add_u32 v26, v33, 2, v27
	s_and_b64 s[26:27], s[24:25], s[26:27]
	s_and_saveexec_b64 s[24:25], s[26:27]
; %bb.26:
	v_bcnt_u32_b32 v4, v4, 0
	v_bcnt_u32_b32 v4, v5, v4
	ds_write_b32 v26, v4 offset:32
; %bb.27:
	s_or_b64 exec, exec, s[24:25]
	v_lshrrev_b32_e32 v4, s68, v7
	v_and_b32_e32 v5, s33, v4
	v_mul_lo_u32 v4, v5, 36
	v_and_b32_e32 v27, 1, v5
	; wave barrier
	v_lshl_add_u32 v28, v33, 2, v4
	v_add_co_u32_e64 v4, s[24:25], -1, v27
	v_addc_co_u32_e64 v29, s[24:25], 0, -1, s[24:25]
	v_cmp_ne_u32_e64 s[24:25], 0, v27
	v_xor_b32_e32 v4, s24, v4
	v_xor_b32_e32 v27, s25, v29
	v_and_b32_e32 v29, exec_lo, v4
	v_lshlrev_b32_e32 v4, 30, v5
	v_cmp_gt_i64_e64 s[24:25], 0, v[3:4]
	v_not_b32_e32 v4, v4
	v_ashrrev_i32_e32 v4, 31, v4
	v_xor_b32_e32 v30, s25, v4
	v_xor_b32_e32 v4, s24, v4
	v_and_b32_e32 v29, v29, v4
	v_lshlrev_b32_e32 v4, 29, v5
	v_cmp_gt_i64_e64 s[24:25], 0, v[3:4]
	v_not_b32_e32 v4, v4
	v_and_b32_e32 v27, exec_hi, v27
	v_ashrrev_i32_e32 v4, 31, v4
	v_and_b32_e32 v27, v27, v30
	v_xor_b32_e32 v30, s25, v4
	v_xor_b32_e32 v4, s24, v4
	v_and_b32_e32 v29, v29, v4
	v_lshlrev_b32_e32 v4, 28, v5
	v_cmp_gt_i64_e64 s[24:25], 0, v[3:4]
	v_not_b32_e32 v4, v4
	v_ashrrev_i32_e32 v4, 31, v4
	v_and_b32_e32 v27, v27, v30
	v_xor_b32_e32 v30, s25, v4
	v_xor_b32_e32 v4, s24, v4
	v_and_b32_e32 v29, v29, v4
	v_lshlrev_b32_e32 v4, 27, v5
	v_cmp_gt_i64_e64 s[24:25], 0, v[3:4]
	v_not_b32_e32 v3, v4
	v_ashrrev_i32_e32 v3, 31, v3
	v_xor_b32_e32 v4, s25, v3
	v_xor_b32_e32 v3, s24, v3
	ds_read_b32 v25, v28 offset:32
	v_and_b32_e32 v27, v27, v30
	v_and_b32_e32 v3, v29, v3
	;; [unrolled: 1-line block ×3, first 2 shown]
	v_mbcnt_lo_u32_b32 v5, v3, 0
	v_mbcnt_hi_u32_b32 v27, v4, v5
	v_cmp_ne_u64_e64 s[24:25], 0, v[3:4]
	v_cmp_eq_u32_e64 s[26:27], 0, v27
	s_and_b64 s[26:27], s[24:25], s[26:27]
	; wave barrier
	s_and_saveexec_b64 s[24:25], s[26:27]
	s_cbranch_execz .LBB14_29
; %bb.28:
	v_bcnt_u32_b32 v3, v3, 0
	v_bcnt_u32_b32 v3, v4, v3
	s_waitcnt lgkmcnt(0)
	v_add_u32_e32 v3, v25, v3
	ds_write_b32 v28, v3 offset:32
.LBB14_29:
	s_or_b64 exec, exec, s[24:25]
	v_lshrrev_b32_e32 v3, s68, v10
	v_and_b32_e32 v5, s33, v3
	v_and_b32_e32 v4, 1, v5
	v_mul_lo_u32 v3, v5, 36
	v_add_co_u32_e64 v30, s[24:25], -1, v4
	v_addc_co_u32_e64 v32, s[24:25], 0, -1, s[24:25]
	v_cmp_ne_u32_e64 s[24:25], 0, v4
	v_xor_b32_e32 v4, s25, v32
	v_lshl_add_u32 v31, v33, 2, v3
	v_mov_b32_e32 v3, 0
	v_and_b32_e32 v32, exec_hi, v4
	v_lshlrev_b32_e32 v4, 30, v5
	v_xor_b32_e32 v30, s24, v30
	v_cmp_gt_i64_e64 s[24:25], 0, v[3:4]
	v_not_b32_e32 v4, v4
	v_ashrrev_i32_e32 v4, 31, v4
	v_and_b32_e32 v30, exec_lo, v30
	v_xor_b32_e32 v34, s25, v4
	v_xor_b32_e32 v4, s24, v4
	v_and_b32_e32 v30, v30, v4
	v_lshlrev_b32_e32 v4, 29, v5
	v_cmp_gt_i64_e64 s[24:25], 0, v[3:4]
	v_not_b32_e32 v4, v4
	v_ashrrev_i32_e32 v4, 31, v4
	v_and_b32_e32 v32, v32, v34
	v_xor_b32_e32 v34, s25, v4
	v_xor_b32_e32 v4, s24, v4
	v_and_b32_e32 v30, v30, v4
	v_lshlrev_b32_e32 v4, 28, v5
	v_cmp_gt_i64_e64 s[24:25], 0, v[3:4]
	v_not_b32_e32 v4, v4
	v_ashrrev_i32_e32 v4, 31, v4
	v_and_b32_e32 v32, v32, v34
	v_xor_b32_e32 v34, s25, v4
	v_xor_b32_e32 v4, s24, v4
	v_and_b32_e32 v30, v30, v4
	v_lshlrev_b32_e32 v4, 27, v5
	v_cmp_gt_i64_e64 s[24:25], 0, v[3:4]
	v_not_b32_e32 v4, v4
	v_ashrrev_i32_e32 v4, 31, v4
	v_xor_b32_e32 v5, s25, v4
	v_xor_b32_e32 v4, s24, v4
	; wave barrier
	ds_read_b32 v29, v31 offset:32
	v_and_b32_e32 v32, v32, v34
	v_and_b32_e32 v4, v30, v4
	;; [unrolled: 1-line block ×3, first 2 shown]
	v_mbcnt_lo_u32_b32 v30, v4, 0
	v_mbcnt_hi_u32_b32 v30, v5, v30
	v_cmp_ne_u64_e64 s[24:25], 0, v[4:5]
	v_cmp_eq_u32_e64 s[26:27], 0, v30
	s_and_b64 s[26:27], s[24:25], s[26:27]
	; wave barrier
	s_and_saveexec_b64 s[24:25], s[26:27]
	s_cbranch_execz .LBB14_31
; %bb.30:
	v_bcnt_u32_b32 v4, v4, 0
	v_bcnt_u32_b32 v4, v5, v4
	s_waitcnt lgkmcnt(0)
	v_add_u32_e32 v4, v29, v4
	ds_write_b32 v31, v4 offset:32
.LBB14_31:
	s_or_b64 exec, exec, s[24:25]
	v_lshrrev_b32_e32 v4, s68, v9
	v_and_b32_e32 v5, s33, v4
	v_mul_lo_u32 v4, v5, 36
	v_and_b32_e32 v34, 1, v5
	; wave barrier
	v_lshl_add_u32 v35, v33, 2, v4
	v_add_co_u32_e64 v4, s[24:25], -1, v34
	v_addc_co_u32_e64 v36, s[24:25], 0, -1, s[24:25]
	v_cmp_ne_u32_e64 s[24:25], 0, v34
	v_xor_b32_e32 v4, s24, v4
	v_xor_b32_e32 v34, s25, v36
	v_and_b32_e32 v36, exec_lo, v4
	v_lshlrev_b32_e32 v4, 30, v5
	v_cmp_gt_i64_e64 s[24:25], 0, v[3:4]
	v_not_b32_e32 v4, v4
	v_ashrrev_i32_e32 v4, 31, v4
	v_xor_b32_e32 v37, s25, v4
	v_xor_b32_e32 v4, s24, v4
	v_and_b32_e32 v36, v36, v4
	v_lshlrev_b32_e32 v4, 29, v5
	v_cmp_gt_i64_e64 s[24:25], 0, v[3:4]
	v_not_b32_e32 v4, v4
	v_and_b32_e32 v34, exec_hi, v34
	v_ashrrev_i32_e32 v4, 31, v4
	v_and_b32_e32 v34, v34, v37
	v_xor_b32_e32 v37, s25, v4
	v_xor_b32_e32 v4, s24, v4
	v_and_b32_e32 v36, v36, v4
	v_lshlrev_b32_e32 v4, 28, v5
	v_cmp_gt_i64_e64 s[24:25], 0, v[3:4]
	v_not_b32_e32 v4, v4
	v_ashrrev_i32_e32 v4, 31, v4
	v_and_b32_e32 v34, v34, v37
	v_xor_b32_e32 v37, s25, v4
	v_xor_b32_e32 v4, s24, v4
	v_and_b32_e32 v36, v36, v4
	v_lshlrev_b32_e32 v4, 27, v5
	v_cmp_gt_i64_e64 s[24:25], 0, v[3:4]
	v_not_b32_e32 v3, v4
	v_ashrrev_i32_e32 v3, 31, v3
	v_xor_b32_e32 v4, s25, v3
	v_xor_b32_e32 v3, s24, v3
	ds_read_b32 v32, v35 offset:32
	v_and_b32_e32 v34, v34, v37
	v_and_b32_e32 v3, v36, v3
	;; [unrolled: 1-line block ×3, first 2 shown]
	v_mbcnt_lo_u32_b32 v5, v3, 0
	v_mbcnt_hi_u32_b32 v34, v4, v5
	v_cmp_ne_u64_e64 s[24:25], 0, v[3:4]
	v_cmp_eq_u32_e64 s[26:27], 0, v34
	s_and_b64 s[26:27], s[24:25], s[26:27]
	; wave barrier
	s_and_saveexec_b64 s[24:25], s[26:27]
	s_cbranch_execz .LBB14_33
; %bb.32:
	v_bcnt_u32_b32 v3, v3, 0
	v_bcnt_u32_b32 v3, v4, v3
	s_waitcnt lgkmcnt(0)
	v_add_u32_e32 v3, v32, v3
	ds_write_b32 v35, v3 offset:32
.LBB14_33:
	s_or_b64 exec, exec, s[24:25]
	v_lshrrev_b32_e32 v3, s68, v16
	v_and_b32_e32 v5, s33, v3
	v_and_b32_e32 v4, 1, v5
	v_mul_lo_u32 v3, v5, 36
	v_add_co_u32_e64 v37, s[24:25], -1, v4
	v_addc_co_u32_e64 v39, s[24:25], 0, -1, s[24:25]
	v_cmp_ne_u32_e64 s[24:25], 0, v4
	v_xor_b32_e32 v4, s25, v39
	v_lshl_add_u32 v38, v33, 2, v3
	v_mov_b32_e32 v3, 0
	v_and_b32_e32 v39, exec_hi, v4
	v_lshlrev_b32_e32 v4, 30, v5
	v_xor_b32_e32 v37, s24, v37
	v_cmp_gt_i64_e64 s[24:25], 0, v[3:4]
	v_not_b32_e32 v4, v4
	v_ashrrev_i32_e32 v4, 31, v4
	v_and_b32_e32 v37, exec_lo, v37
	v_xor_b32_e32 v40, s25, v4
	v_xor_b32_e32 v4, s24, v4
	v_and_b32_e32 v37, v37, v4
	v_lshlrev_b32_e32 v4, 29, v5
	v_cmp_gt_i64_e64 s[24:25], 0, v[3:4]
	v_not_b32_e32 v4, v4
	v_ashrrev_i32_e32 v4, 31, v4
	v_and_b32_e32 v39, v39, v40
	v_xor_b32_e32 v40, s25, v4
	v_xor_b32_e32 v4, s24, v4
	v_and_b32_e32 v37, v37, v4
	v_lshlrev_b32_e32 v4, 28, v5
	v_cmp_gt_i64_e64 s[24:25], 0, v[3:4]
	v_not_b32_e32 v4, v4
	v_ashrrev_i32_e32 v4, 31, v4
	v_and_b32_e32 v39, v39, v40
	v_xor_b32_e32 v40, s25, v4
	v_xor_b32_e32 v4, s24, v4
	v_and_b32_e32 v37, v37, v4
	v_lshlrev_b32_e32 v4, 27, v5
	v_cmp_gt_i64_e64 s[24:25], 0, v[3:4]
	v_not_b32_e32 v4, v4
	v_ashrrev_i32_e32 v4, 31, v4
	v_xor_b32_e32 v5, s25, v4
	v_xor_b32_e32 v4, s24, v4
	; wave barrier
	ds_read_b32 v36, v38 offset:32
	v_and_b32_e32 v39, v39, v40
	v_and_b32_e32 v4, v37, v4
	;; [unrolled: 1-line block ×3, first 2 shown]
	v_mbcnt_lo_u32_b32 v37, v4, 0
	v_mbcnt_hi_u32_b32 v37, v5, v37
	v_cmp_ne_u64_e64 s[24:25], 0, v[4:5]
	v_cmp_eq_u32_e64 s[26:27], 0, v37
	s_and_b64 s[26:27], s[24:25], s[26:27]
	; wave barrier
	s_and_saveexec_b64 s[24:25], s[26:27]
	s_cbranch_execz .LBB14_35
; %bb.34:
	v_bcnt_u32_b32 v4, v4, 0
	v_bcnt_u32_b32 v4, v5, v4
	s_waitcnt lgkmcnt(0)
	v_add_u32_e32 v4, v36, v4
	ds_write_b32 v38, v4 offset:32
.LBB14_35:
	s_or_b64 exec, exec, s[24:25]
	v_lshrrev_b32_e32 v4, s68, v15
	v_and_b32_e32 v5, s33, v4
	v_mul_lo_u32 v4, v5, 36
	v_and_b32_e32 v40, 1, v5
	; wave barrier
	v_lshl_add_u32 v42, v33, 2, v4
	v_add_co_u32_e64 v4, s[24:25], -1, v40
	v_addc_co_u32_e64 v41, s[24:25], 0, -1, s[24:25]
	v_cmp_ne_u32_e64 s[24:25], 0, v40
	v_xor_b32_e32 v4, s24, v4
	v_xor_b32_e32 v40, s25, v41
	v_and_b32_e32 v41, exec_lo, v4
	v_lshlrev_b32_e32 v4, 30, v5
	v_cmp_gt_i64_e64 s[24:25], 0, v[3:4]
	v_not_b32_e32 v4, v4
	v_ashrrev_i32_e32 v4, 31, v4
	v_xor_b32_e32 v43, s25, v4
	v_xor_b32_e32 v4, s24, v4
	v_and_b32_e32 v41, v41, v4
	v_lshlrev_b32_e32 v4, 29, v5
	v_cmp_gt_i64_e64 s[24:25], 0, v[3:4]
	v_not_b32_e32 v4, v4
	v_and_b32_e32 v40, exec_hi, v40
	v_ashrrev_i32_e32 v4, 31, v4
	v_and_b32_e32 v40, v40, v43
	v_xor_b32_e32 v43, s25, v4
	v_xor_b32_e32 v4, s24, v4
	v_and_b32_e32 v41, v41, v4
	v_lshlrev_b32_e32 v4, 28, v5
	v_cmp_gt_i64_e64 s[24:25], 0, v[3:4]
	v_not_b32_e32 v4, v4
	v_ashrrev_i32_e32 v4, 31, v4
	v_and_b32_e32 v40, v40, v43
	v_xor_b32_e32 v43, s25, v4
	v_xor_b32_e32 v4, s24, v4
	v_and_b32_e32 v41, v41, v4
	v_lshlrev_b32_e32 v4, 27, v5
	v_cmp_gt_i64_e64 s[24:25], 0, v[3:4]
	v_not_b32_e32 v3, v4
	v_ashrrev_i32_e32 v3, 31, v3
	v_xor_b32_e32 v4, s25, v3
	v_xor_b32_e32 v3, s24, v3
	ds_read_b32 v39, v42 offset:32
	v_and_b32_e32 v40, v40, v43
	v_and_b32_e32 v3, v41, v3
	;; [unrolled: 1-line block ×3, first 2 shown]
	v_mbcnt_lo_u32_b32 v5, v3, 0
	v_mbcnt_hi_u32_b32 v40, v4, v5
	v_cmp_ne_u64_e64 s[24:25], 0, v[3:4]
	v_cmp_eq_u32_e64 s[26:27], 0, v40
	s_and_b64 s[26:27], s[24:25], s[26:27]
	; wave barrier
	s_and_saveexec_b64 s[24:25], s[26:27]
	s_cbranch_execz .LBB14_37
; %bb.36:
	v_bcnt_u32_b32 v3, v3, 0
	v_bcnt_u32_b32 v3, v4, v3
	s_waitcnt lgkmcnt(0)
	v_add_u32_e32 v3, v39, v3
	ds_write_b32 v42, v3 offset:32
.LBB14_37:
	s_or_b64 exec, exec, s[24:25]
	v_lshrrev_b32_e32 v3, s68, v18
	v_and_b32_e32 v5, s33, v3
	v_and_b32_e32 v4, 1, v5
	v_mul_lo_u32 v3, v5, 36
	v_add_co_u32_e64 v43, s[24:25], -1, v4
	v_addc_co_u32_e64 v44, s[24:25], 0, -1, s[24:25]
	v_cmp_ne_u32_e64 s[24:25], 0, v4
	v_xor_b32_e32 v4, s25, v44
	v_lshl_add_u32 v45, v33, 2, v3
	v_mov_b32_e32 v3, 0
	v_and_b32_e32 v44, exec_hi, v4
	v_lshlrev_b32_e32 v4, 30, v5
	v_xor_b32_e32 v43, s24, v43
	v_cmp_gt_i64_e64 s[24:25], 0, v[3:4]
	v_not_b32_e32 v4, v4
	v_ashrrev_i32_e32 v4, 31, v4
	v_and_b32_e32 v43, exec_lo, v43
	v_xor_b32_e32 v46, s25, v4
	v_xor_b32_e32 v4, s24, v4
	v_and_b32_e32 v43, v43, v4
	v_lshlrev_b32_e32 v4, 29, v5
	v_cmp_gt_i64_e64 s[24:25], 0, v[3:4]
	v_not_b32_e32 v4, v4
	v_ashrrev_i32_e32 v4, 31, v4
	v_and_b32_e32 v44, v44, v46
	v_xor_b32_e32 v46, s25, v4
	v_xor_b32_e32 v4, s24, v4
	v_and_b32_e32 v43, v43, v4
	v_lshlrev_b32_e32 v4, 28, v5
	v_cmp_gt_i64_e64 s[24:25], 0, v[3:4]
	v_not_b32_e32 v4, v4
	v_ashrrev_i32_e32 v4, 31, v4
	v_and_b32_e32 v44, v44, v46
	v_xor_b32_e32 v46, s25, v4
	v_xor_b32_e32 v4, s24, v4
	v_and_b32_e32 v43, v43, v4
	v_lshlrev_b32_e32 v4, 27, v5
	v_cmp_gt_i64_e64 s[24:25], 0, v[3:4]
	v_not_b32_e32 v4, v4
	v_ashrrev_i32_e32 v4, 31, v4
	v_xor_b32_e32 v5, s25, v4
	v_xor_b32_e32 v4, s24, v4
	; wave barrier
	ds_read_b32 v41, v45 offset:32
	v_and_b32_e32 v44, v44, v46
	v_and_b32_e32 v4, v43, v4
	;; [unrolled: 1-line block ×3, first 2 shown]
	v_mbcnt_lo_u32_b32 v43, v4, 0
	v_mbcnt_hi_u32_b32 v43, v5, v43
	v_cmp_ne_u64_e64 s[24:25], 0, v[4:5]
	v_cmp_eq_u32_e64 s[26:27], 0, v43
	s_and_b64 s[26:27], s[24:25], s[26:27]
	; wave barrier
	s_and_saveexec_b64 s[24:25], s[26:27]
	s_cbranch_execz .LBB14_39
; %bb.38:
	v_bcnt_u32_b32 v4, v4, 0
	v_bcnt_u32_b32 v4, v5, v4
	s_waitcnt lgkmcnt(0)
	v_add_u32_e32 v4, v41, v4
	ds_write_b32 v45, v4 offset:32
.LBB14_39:
	s_or_b64 exec, exec, s[24:25]
	v_lshrrev_b32_e32 v4, s68, v17
	v_and_b32_e32 v5, s33, v4
	v_mul_lo_u32 v4, v5, 36
	v_and_b32_e32 v46, 1, v5
	; wave barrier
	v_lshl_add_u32 v48, v33, 2, v4
	v_add_co_u32_e64 v4, s[24:25], -1, v46
	v_addc_co_u32_e64 v47, s[24:25], 0, -1, s[24:25]
	v_cmp_ne_u32_e64 s[24:25], 0, v46
	v_xor_b32_e32 v4, s24, v4
	v_xor_b32_e32 v46, s25, v47
	v_and_b32_e32 v47, exec_lo, v4
	v_lshlrev_b32_e32 v4, 30, v5
	v_cmp_gt_i64_e64 s[24:25], 0, v[3:4]
	v_not_b32_e32 v4, v4
	v_ashrrev_i32_e32 v4, 31, v4
	v_xor_b32_e32 v49, s25, v4
	v_xor_b32_e32 v4, s24, v4
	v_and_b32_e32 v47, v47, v4
	v_lshlrev_b32_e32 v4, 29, v5
	v_cmp_gt_i64_e64 s[24:25], 0, v[3:4]
	v_not_b32_e32 v4, v4
	v_and_b32_e32 v46, exec_hi, v46
	v_ashrrev_i32_e32 v4, 31, v4
	v_and_b32_e32 v46, v46, v49
	v_xor_b32_e32 v49, s25, v4
	v_xor_b32_e32 v4, s24, v4
	v_and_b32_e32 v47, v47, v4
	v_lshlrev_b32_e32 v4, 28, v5
	v_cmp_gt_i64_e64 s[24:25], 0, v[3:4]
	v_not_b32_e32 v4, v4
	v_ashrrev_i32_e32 v4, 31, v4
	v_and_b32_e32 v46, v46, v49
	v_xor_b32_e32 v49, s25, v4
	v_xor_b32_e32 v4, s24, v4
	v_and_b32_e32 v47, v47, v4
	v_lshlrev_b32_e32 v4, 27, v5
	v_cmp_gt_i64_e64 s[24:25], 0, v[3:4]
	v_not_b32_e32 v3, v4
	v_ashrrev_i32_e32 v3, 31, v3
	v_xor_b32_e32 v4, s25, v3
	v_xor_b32_e32 v3, s24, v3
	ds_read_b32 v44, v48 offset:32
	v_and_b32_e32 v46, v46, v49
	v_and_b32_e32 v3, v47, v3
	;; [unrolled: 1-line block ×3, first 2 shown]
	v_mbcnt_lo_u32_b32 v5, v3, 0
	v_mbcnt_hi_u32_b32 v46, v4, v5
	v_cmp_ne_u64_e64 s[24:25], 0, v[3:4]
	v_cmp_eq_u32_e64 s[26:27], 0, v46
	s_and_b64 s[26:27], s[24:25], s[26:27]
	; wave barrier
	s_and_saveexec_b64 s[24:25], s[26:27]
	s_cbranch_execz .LBB14_41
; %bb.40:
	v_bcnt_u32_b32 v3, v3, 0
	v_bcnt_u32_b32 v3, v4, v3
	s_waitcnt lgkmcnt(0)
	v_add_u32_e32 v3, v44, v3
	ds_write_b32 v48, v3 offset:32
.LBB14_41:
	s_or_b64 exec, exec, s[24:25]
	v_lshrrev_b32_e32 v3, s68, v20
	v_and_b32_e32 v5, s33, v3
	v_and_b32_e32 v4, 1, v5
	v_mul_lo_u32 v3, v5, 36
	v_add_co_u32_e64 v49, s[24:25], -1, v4
	v_addc_co_u32_e64 v50, s[24:25], 0, -1, s[24:25]
	v_cmp_ne_u32_e64 s[24:25], 0, v4
	v_xor_b32_e32 v4, s25, v50
	v_lshl_add_u32 v51, v33, 2, v3
	v_mov_b32_e32 v3, 0
	v_and_b32_e32 v50, exec_hi, v4
	v_lshlrev_b32_e32 v4, 30, v5
	v_xor_b32_e32 v49, s24, v49
	v_cmp_gt_i64_e64 s[24:25], 0, v[3:4]
	v_not_b32_e32 v4, v4
	v_ashrrev_i32_e32 v4, 31, v4
	v_and_b32_e32 v49, exec_lo, v49
	v_xor_b32_e32 v52, s25, v4
	v_xor_b32_e32 v4, s24, v4
	v_and_b32_e32 v49, v49, v4
	v_lshlrev_b32_e32 v4, 29, v5
	v_cmp_gt_i64_e64 s[24:25], 0, v[3:4]
	v_not_b32_e32 v4, v4
	v_ashrrev_i32_e32 v4, 31, v4
	v_and_b32_e32 v50, v50, v52
	v_xor_b32_e32 v52, s25, v4
	v_xor_b32_e32 v4, s24, v4
	v_and_b32_e32 v49, v49, v4
	v_lshlrev_b32_e32 v4, 28, v5
	v_cmp_gt_i64_e64 s[24:25], 0, v[3:4]
	v_not_b32_e32 v4, v4
	v_ashrrev_i32_e32 v4, 31, v4
	v_and_b32_e32 v50, v50, v52
	v_xor_b32_e32 v52, s25, v4
	v_xor_b32_e32 v4, s24, v4
	v_and_b32_e32 v49, v49, v4
	v_lshlrev_b32_e32 v4, 27, v5
	v_cmp_gt_i64_e64 s[24:25], 0, v[3:4]
	v_not_b32_e32 v4, v4
	v_ashrrev_i32_e32 v4, 31, v4
	v_xor_b32_e32 v5, s25, v4
	v_xor_b32_e32 v4, s24, v4
	; wave barrier
	ds_read_b32 v47, v51 offset:32
	v_and_b32_e32 v50, v50, v52
	v_and_b32_e32 v4, v49, v4
	;; [unrolled: 1-line block ×3, first 2 shown]
	v_mbcnt_lo_u32_b32 v49, v4, 0
	v_mbcnt_hi_u32_b32 v49, v5, v49
	v_cmp_ne_u64_e64 s[24:25], 0, v[4:5]
	v_cmp_eq_u32_e64 s[26:27], 0, v49
	s_and_b64 s[26:27], s[24:25], s[26:27]
	; wave barrier
	s_and_saveexec_b64 s[24:25], s[26:27]
	s_cbranch_execz .LBB14_43
; %bb.42:
	v_bcnt_u32_b32 v4, v4, 0
	v_bcnt_u32_b32 v4, v5, v4
	s_waitcnt lgkmcnt(0)
	v_add_u32_e32 v4, v47, v4
	ds_write_b32 v51, v4 offset:32
.LBB14_43:
	s_or_b64 exec, exec, s[24:25]
	v_lshrrev_b32_e32 v4, s68, v19
	v_and_b32_e32 v5, s33, v4
	v_mul_lo_u32 v4, v5, 36
	v_and_b32_e32 v52, 1, v5
	; wave barrier
	v_lshl_add_u32 v54, v33, 2, v4
	v_add_co_u32_e64 v4, s[24:25], -1, v52
	v_addc_co_u32_e64 v53, s[24:25], 0, -1, s[24:25]
	v_cmp_ne_u32_e64 s[24:25], 0, v52
	v_xor_b32_e32 v4, s24, v4
	v_xor_b32_e32 v52, s25, v53
	v_and_b32_e32 v53, exec_lo, v4
	v_lshlrev_b32_e32 v4, 30, v5
	v_cmp_gt_i64_e64 s[24:25], 0, v[3:4]
	v_not_b32_e32 v4, v4
	v_ashrrev_i32_e32 v4, 31, v4
	v_xor_b32_e32 v55, s25, v4
	v_xor_b32_e32 v4, s24, v4
	v_and_b32_e32 v53, v53, v4
	v_lshlrev_b32_e32 v4, 29, v5
	v_cmp_gt_i64_e64 s[24:25], 0, v[3:4]
	v_not_b32_e32 v4, v4
	v_and_b32_e32 v52, exec_hi, v52
	v_ashrrev_i32_e32 v4, 31, v4
	v_and_b32_e32 v52, v52, v55
	v_xor_b32_e32 v55, s25, v4
	v_xor_b32_e32 v4, s24, v4
	v_and_b32_e32 v53, v53, v4
	v_lshlrev_b32_e32 v4, 28, v5
	v_cmp_gt_i64_e64 s[24:25], 0, v[3:4]
	v_not_b32_e32 v4, v4
	v_ashrrev_i32_e32 v4, 31, v4
	v_and_b32_e32 v52, v52, v55
	v_xor_b32_e32 v55, s25, v4
	v_xor_b32_e32 v4, s24, v4
	v_and_b32_e32 v53, v53, v4
	v_lshlrev_b32_e32 v4, 27, v5
	v_cmp_gt_i64_e64 s[24:25], 0, v[3:4]
	v_not_b32_e32 v3, v4
	v_ashrrev_i32_e32 v3, 31, v3
	v_xor_b32_e32 v4, s25, v3
	v_xor_b32_e32 v3, s24, v3
	ds_read_b32 v50, v54 offset:32
	v_and_b32_e32 v52, v52, v55
	v_and_b32_e32 v3, v53, v3
	;; [unrolled: 1-line block ×3, first 2 shown]
	v_mbcnt_lo_u32_b32 v5, v3, 0
	v_mbcnt_hi_u32_b32 v52, v4, v5
	v_cmp_ne_u64_e64 s[24:25], 0, v[3:4]
	v_cmp_eq_u32_e64 s[26:27], 0, v52
	s_and_b64 s[26:27], s[24:25], s[26:27]
	; wave barrier
	s_and_saveexec_b64 s[24:25], s[26:27]
	s_cbranch_execz .LBB14_45
; %bb.44:
	v_bcnt_u32_b32 v3, v3, 0
	v_bcnt_u32_b32 v3, v4, v3
	s_waitcnt lgkmcnt(0)
	v_add_u32_e32 v3, v50, v3
	ds_write_b32 v54, v3 offset:32
.LBB14_45:
	s_or_b64 exec, exec, s[24:25]
	v_lshrrev_b32_e32 v3, s68, v22
	v_and_b32_e32 v5, s33, v3
	v_and_b32_e32 v4, 1, v5
	v_mul_lo_u32 v3, v5, 36
	v_add_co_u32_e64 v55, s[24:25], -1, v4
	v_addc_co_u32_e64 v57, s[24:25], 0, -1, s[24:25]
	v_cmp_ne_u32_e64 s[24:25], 0, v4
	v_xor_b32_e32 v4, s25, v57
	v_lshl_add_u32 v56, v33, 2, v3
	v_mov_b32_e32 v3, 0
	v_and_b32_e32 v57, exec_hi, v4
	v_lshlrev_b32_e32 v4, 30, v5
	v_xor_b32_e32 v55, s24, v55
	v_cmp_gt_i64_e64 s[24:25], 0, v[3:4]
	v_not_b32_e32 v4, v4
	v_ashrrev_i32_e32 v4, 31, v4
	v_and_b32_e32 v55, exec_lo, v55
	v_xor_b32_e32 v58, s25, v4
	v_xor_b32_e32 v4, s24, v4
	v_and_b32_e32 v55, v55, v4
	v_lshlrev_b32_e32 v4, 29, v5
	v_cmp_gt_i64_e64 s[24:25], 0, v[3:4]
	v_not_b32_e32 v4, v4
	v_ashrrev_i32_e32 v4, 31, v4
	v_and_b32_e32 v57, v57, v58
	v_xor_b32_e32 v58, s25, v4
	v_xor_b32_e32 v4, s24, v4
	v_and_b32_e32 v55, v55, v4
	v_lshlrev_b32_e32 v4, 28, v5
	v_cmp_gt_i64_e64 s[24:25], 0, v[3:4]
	v_not_b32_e32 v4, v4
	v_ashrrev_i32_e32 v4, 31, v4
	v_and_b32_e32 v57, v57, v58
	v_xor_b32_e32 v58, s25, v4
	v_xor_b32_e32 v4, s24, v4
	v_and_b32_e32 v55, v55, v4
	v_lshlrev_b32_e32 v4, 27, v5
	v_cmp_gt_i64_e64 s[24:25], 0, v[3:4]
	v_not_b32_e32 v4, v4
	v_ashrrev_i32_e32 v4, 31, v4
	v_xor_b32_e32 v5, s25, v4
	v_xor_b32_e32 v4, s24, v4
	; wave barrier
	ds_read_b32 v53, v56 offset:32
	v_and_b32_e32 v57, v57, v58
	v_and_b32_e32 v4, v55, v4
	v_and_b32_e32 v5, v57, v5
	v_mbcnt_lo_u32_b32 v55, v4, 0
	v_mbcnt_hi_u32_b32 v55, v5, v55
	v_cmp_ne_u64_e64 s[24:25], 0, v[4:5]
	v_cmp_eq_u32_e64 s[26:27], 0, v55
	s_and_b64 s[26:27], s[24:25], s[26:27]
	; wave barrier
	s_and_saveexec_b64 s[24:25], s[26:27]
	s_cbranch_execz .LBB14_47
; %bb.46:
	v_bcnt_u32_b32 v4, v4, 0
	v_bcnt_u32_b32 v4, v5, v4
	s_waitcnt lgkmcnt(0)
	v_add_u32_e32 v4, v53, v4
	ds_write_b32 v56, v4 offset:32
.LBB14_47:
	s_or_b64 exec, exec, s[24:25]
	v_lshrrev_b32_e32 v4, s68, v21
	v_and_b32_e32 v58, s33, v4
	v_mul_lo_u32 v4, v58, 36
	v_and_b32_e32 v59, 1, v58
	; wave barrier
	v_lshl_add_u32 v57, v33, 2, v4
	v_add_co_u32_e64 v4, s[24:25], -1, v59
	v_addc_co_u32_e64 v33, s[24:25], 0, -1, s[24:25]
	v_cmp_ne_u32_e64 s[24:25], 0, v59
	v_xor_b32_e32 v4, s24, v4
	v_and_b32_e32 v59, exec_lo, v4
	v_lshlrev_b32_e32 v4, 30, v58
	v_xor_b32_e32 v33, s25, v33
	v_cmp_gt_i64_e64 s[24:25], 0, v[3:4]
	v_not_b32_e32 v4, v4
	v_ashrrev_i32_e32 v4, 31, v4
	v_xor_b32_e32 v60, s25, v4
	v_xor_b32_e32 v4, s24, v4
	v_and_b32_e32 v59, v59, v4
	v_lshlrev_b32_e32 v4, 29, v58
	v_cmp_gt_i64_e64 s[24:25], 0, v[3:4]
	v_not_b32_e32 v4, v4
	v_and_b32_e32 v33, exec_hi, v33
	v_ashrrev_i32_e32 v4, 31, v4
	v_and_b32_e32 v33, v33, v60
	v_xor_b32_e32 v60, s25, v4
	v_xor_b32_e32 v4, s24, v4
	v_and_b32_e32 v59, v59, v4
	v_lshlrev_b32_e32 v4, 28, v58
	v_cmp_gt_i64_e64 s[24:25], 0, v[3:4]
	v_not_b32_e32 v4, v4
	v_ashrrev_i32_e32 v4, 31, v4
	v_and_b32_e32 v33, v33, v60
	v_xor_b32_e32 v60, s25, v4
	v_xor_b32_e32 v4, s24, v4
	v_and_b32_e32 v59, v59, v4
	v_lshlrev_b32_e32 v4, 27, v58
	v_cmp_gt_i64_e64 s[24:25], 0, v[3:4]
	v_not_b32_e32 v3, v4
	v_ashrrev_i32_e32 v3, 31, v3
	v_xor_b32_e32 v4, s25, v3
	v_xor_b32_e32 v3, s24, v3
	ds_read_b32 v5, v57 offset:32
	v_and_b32_e32 v33, v33, v60
	v_and_b32_e32 v3, v59, v3
	;; [unrolled: 1-line block ×3, first 2 shown]
	v_mbcnt_lo_u32_b32 v33, v3, 0
	v_mbcnt_hi_u32_b32 v33, v4, v33
	v_cmp_ne_u64_e64 s[24:25], 0, v[3:4]
	v_cmp_eq_u32_e64 s[26:27], 0, v33
	s_and_b64 s[26:27], s[24:25], s[26:27]
	; wave barrier
	s_and_saveexec_b64 s[24:25], s[26:27]
	s_cbranch_execz .LBB14_49
; %bb.48:
	v_bcnt_u32_b32 v3, v3, 0
	v_bcnt_u32_b32 v3, v4, v3
	s_waitcnt lgkmcnt(0)
	v_add_u32_e32 v3, v5, v3
	ds_write_b32 v57, v3 offset:32
.LBB14_49:
	s_or_b64 exec, exec, s[24:25]
	; wave barrier
	s_waitcnt lgkmcnt(0)
	s_barrier
	ds_read_b32 v3, v12 offset:32
	v_and_b32_e32 v4, 15, v6
	v_cmp_ne_u32_e64 s[24:25], 0, v4
	v_min_u32_e32 v23, 0x1c0, v23
	v_or_b32_e32 v23, 63, v23
	s_waitcnt lgkmcnt(0)
	v_mov_b32_dpp v58, v3 row_shr:1 row_mask:0xf bank_mask:0xf
	v_cndmask_b32_e64 v58, 0, v58, s[24:25]
	v_add_u32_e32 v3, v58, v3
	v_cmp_lt_u32_e64 s[24:25], 1, v4
	s_nop 0
	v_mov_b32_dpp v58, v3 row_shr:2 row_mask:0xf bank_mask:0xf
	v_cndmask_b32_e64 v58, 0, v58, s[24:25]
	v_add_u32_e32 v3, v3, v58
	v_cmp_lt_u32_e64 s[24:25], 3, v4
	s_nop 0
	;; [unrolled: 5-line block ×3, first 2 shown]
	v_mov_b32_dpp v58, v3 row_shr:8 row_mask:0xf bank_mask:0xf
	v_cndmask_b32_e64 v4, 0, v58, s[24:25]
	v_add_u32_e32 v3, v3, v4
	v_bfe_i32 v58, v6, 4, 1
	v_cmp_lt_u32_e64 s[24:25], 31, v6
	v_mov_b32_dpp v4, v3 row_bcast:15 row_mask:0xf bank_mask:0xf
	v_and_b32_e32 v4, v58, v4
	v_add_u32_e32 v3, v3, v4
	s_nop 1
	v_mov_b32_dpp v4, v3 row_bcast:31 row_mask:0xf bank_mask:0xf
	v_cndmask_b32_e64 v4, 0, v4, s[24:25]
	v_add_u32_e32 v3, v3, v4
	v_lshrrev_b32_e32 v4, 6, v0
	v_cmp_eq_u32_e64 s[24:25], v0, v23
	s_and_saveexec_b64 s[26:27], s[24:25]
; %bb.50:
	v_lshlrev_b32_e32 v23, 2, v4
	ds_write_b32 v23, v3
; %bb.51:
	s_or_b64 exec, exec, s[26:27]
	v_cmp_gt_u32_e64 s[24:25], 8, v0
	s_waitcnt lgkmcnt(0)
	s_barrier
	s_and_saveexec_b64 s[26:27], s[24:25]
	s_cbranch_execz .LBB14_53
; %bb.52:
	ds_read_b32 v23, v12
	v_and_b32_e32 v58, 7, v6
	v_cmp_ne_u32_e64 s[24:25], 0, v58
	s_waitcnt lgkmcnt(0)
	v_mov_b32_dpp v59, v23 row_shr:1 row_mask:0xf bank_mask:0xf
	v_cndmask_b32_e64 v59, 0, v59, s[24:25]
	v_add_u32_e32 v23, v59, v23
	v_cmp_lt_u32_e64 s[24:25], 1, v58
	s_nop 0
	v_mov_b32_dpp v59, v23 row_shr:2 row_mask:0xf bank_mask:0xf
	v_cndmask_b32_e64 v59, 0, v59, s[24:25]
	v_add_u32_e32 v23, v23, v59
	v_cmp_lt_u32_e64 s[24:25], 3, v58
	s_nop 0
	v_mov_b32_dpp v59, v23 row_shr:4 row_mask:0xf bank_mask:0xf
	v_cndmask_b32_e64 v58, 0, v59, s[24:25]
	v_add_u32_e32 v23, v23, v58
	ds_write_b32 v12, v23
.LBB14_53:
	s_or_b64 exec, exec, s[26:27]
	v_cmp_lt_u32_e64 s[24:25], 63, v0
	v_mov_b32_e32 v23, 0
	s_waitcnt lgkmcnt(0)
	s_barrier
	s_and_saveexec_b64 s[26:27], s[24:25]
; %bb.54:
	v_lshl_add_u32 v4, v4, 2, -4
	ds_read_b32 v23, v4
; %bb.55:
	s_or_b64 exec, exec, s[26:27]
	v_add_u32_e32 v4, -1, v6
	v_and_b32_e32 v58, 64, v6
	v_cmp_lt_i32_e64 s[24:25], v4, v58
	v_cndmask_b32_e64 v4, v4, v6, s[24:25]
	s_waitcnt lgkmcnt(0)
	v_add_u32_e32 v3, v23, v3
	v_lshlrev_b32_e32 v4, 2, v4
	ds_bpermute_b32 v3, v4, v3
	v_cmp_eq_u32_e64 s[24:25], 0, v6
	v_cmp_gt_u32_e64 s[26:27], 32, v0
	s_waitcnt lgkmcnt(0)
	v_cndmask_b32_e64 v3, v3, v23, s[24:25]
	ds_write_b32 v12, v3 offset:32
	s_waitcnt lgkmcnt(0)
	s_barrier
	ds_read_b32 v62, v26 offset:32
	ds_read_b32 v61, v28 offset:32
	;; [unrolled: 1-line block ×12, first 2 shown]
	v_mov_b32_e32 v3, 0
	v_cmp_lt_u32_e64 s[24:25], 31, v0
	v_mov_b32_e32 v4, 0
                                        ; implicit-def: $vgpr23
	s_and_saveexec_b64 s[30:31], s[26:27]
	s_cbranch_execz .LBB14_59
; %bb.56:
	v_mul_u32_u24_e32 v3, 36, v0
	ds_read_b32 v3, v3 offset:32
	v_add_u32_e32 v6, 1, v0
	v_cmp_ne_u32_e64 s[28:29], 32, v6
	v_mov_b32_e32 v4, 0x1800
	s_and_saveexec_b64 s[34:35], s[28:29]
; %bb.57:
	v_mul_u32_u24_e32 v4, 36, v6
	ds_read_b32 v4, v4 offset:32
; %bb.58:
	s_or_b64 exec, exec, s[34:35]
	s_waitcnt lgkmcnt(0)
	v_sub_u32_e32 v23, v4, v3
	v_mov_b32_e32 v4, 0
.LBB14_59:
	s_or_b64 exec, exec, s[30:31]
	v_lshlrev_b32_e32 v24, 2, v24
	s_waitcnt lgkmcnt(11)
	v_lshl_add_u32 v24, v62, 2, v24
	s_waitcnt lgkmcnt(0)
	s_barrier
	ds_write_b32 v24, v8 offset:256
	v_lshlrev_b32_e32 v8, 2, v61
	v_lshlrev_b32_e32 v27, 2, v27
	v_lshlrev_b32_e32 v25, 2, v25
	v_add3_u32 v25, v8, v27, v25
	ds_write_b32 v25, v7 offset:256
	v_lshlrev_b32_e32 v7, 2, v26
	v_lshlrev_b32_e32 v8, 2, v30
	v_lshlrev_b32_e32 v26, 2, v29
	v_add3_u32 v26, v7, v8, v26
	;; [unrolled: 5-line block ×4, first 2 shown]
	v_lshlrev_b32_e32 v7, 2, v59
	v_lshlrev_b32_e32 v8, 2, v40
	;; [unrolled: 1-line block ×3, first 2 shown]
	ds_write_b32 v28, v16 offset:256
	v_add3_u32 v16, v7, v8, v9
	v_lshlrev_b32_e32 v7, 2, v58
	v_lshlrev_b32_e32 v8, 2, v43
	v_lshlrev_b32_e32 v9, 2, v41
	v_add3_u32 v29, v7, v8, v9
	v_lshlrev_b32_e32 v7, 2, v45
	v_lshlrev_b32_e32 v8, 2, v46
	;; [unrolled: 1-line block ×3, first 2 shown]
	ds_write_b32 v16, v15 offset:256
	ds_write_b32 v29, v18 offset:256
	v_add3_u32 v18, v7, v8, v9
	v_lshlrev_b32_e32 v7, 2, v42
	v_lshlrev_b32_e32 v8, 2, v49
	v_lshlrev_b32_e32 v9, 2, v47
	ds_write_b32 v18, v17 offset:256
	v_add3_u32 v17, v7, v8, v9
	v_lshlrev_b32_e32 v7, 2, v38
	v_lshlrev_b32_e32 v8, 2, v52
	v_lshlrev_b32_e32 v9, 2, v50
	;; [unrolled: 5-line block ×4, first 2 shown]
	v_mov_b32_e32 v6, 0
	ds_write_b32 v19, v22 offset:256
	v_add3_u32 v22, v7, v8, v5
	v_lshlrev_b32_e32 v15, 3, v0
	ds_write_b32 v22, v21 offset:256
	s_waitcnt lgkmcnt(0)
	s_barrier
	s_and_saveexec_b64 s[28:29], s[26:27]
	s_cbranch_execz .LBB14_69
; %bb.60:
	v_lshl_add_u32 v5, s6, 5, v0
	v_lshlrev_b64 v[7:8], 2, v[5:6]
	v_mov_b32_e32 v21, s73
	v_add_co_u32_e64 v7, s[26:27], s72, v7
	v_addc_co_u32_e64 v8, s[26:27], v21, v8, s[26:27]
	v_or_b32_e32 v5, 2.0, v23
	s_mov_b64 s[30:31], 0
	s_brev_b32 s38, -4
	s_mov_b32 s39, s6
	v_mov_b32_e32 v30, 0
	global_store_dword v[7:8], v5, off
                                        ; implicit-def: $sgpr26_sgpr27
	s_branch .LBB14_63
.LBB14_61:                              ;   in Loop: Header=BB14_63 Depth=1
	s_or_b64 exec, exec, s[36:37]
.LBB14_62:                              ;   in Loop: Header=BB14_63 Depth=1
	s_or_b64 exec, exec, s[34:35]
	v_and_b32_e32 v9, 0x3fffffff, v5
	v_add_u32_e32 v30, v9, v30
	v_cmp_gt_i32_e64 s[26:27], -2.0, v5
	s_and_b64 s[34:35], exec, s[26:27]
	s_or_b64 s[30:31], s[34:35], s[30:31]
	s_andn2_b64 exec, exec, s[30:31]
	s_cbranch_execz .LBB14_68
.LBB14_63:                              ; =>This Loop Header: Depth=1
                                        ;     Child Loop BB14_66 Depth 2
	s_or_b64 s[26:27], s[26:27], exec
	s_cmp_eq_u32 s39, 0
	s_cbranch_scc1 .LBB14_67
; %bb.64:                               ;   in Loop: Header=BB14_63 Depth=1
	s_add_i32 s39, s39, -1
	v_lshl_or_b32 v5, s39, 5, v0
	v_lshlrev_b64 v[9:10], 2, v[5:6]
	v_add_co_u32_e64 v9, s[26:27], s72, v9
	v_addc_co_u32_e64 v10, s[26:27], v21, v10, s[26:27]
	global_load_dword v5, v[9:10], off glc
	s_waitcnt vmcnt(0)
	v_cmp_gt_u32_e64 s[26:27], 2.0, v5
	s_and_saveexec_b64 s[34:35], s[26:27]
	s_cbranch_execz .LBB14_62
; %bb.65:                               ;   in Loop: Header=BB14_63 Depth=1
	s_mov_b64 s[36:37], 0
.LBB14_66:                              ;   Parent Loop BB14_63 Depth=1
                                        ; =>  This Inner Loop Header: Depth=2
	global_load_dword v5, v[9:10], off glc
	s_waitcnt vmcnt(0)
	v_cmp_lt_u32_e64 s[26:27], s38, v5
	s_or_b64 s[36:37], s[26:27], s[36:37]
	s_andn2_b64 exec, exec, s[36:37]
	s_cbranch_execnz .LBB14_66
	s_branch .LBB14_61
.LBB14_67:                              ;   in Loop: Header=BB14_63 Depth=1
                                        ; implicit-def: $sgpr39
	s_and_b64 s[34:35], exec, s[26:27]
	s_or_b64 s[30:31], s[34:35], s[30:31]
	s_andn2_b64 exec, exec, s[30:31]
	s_cbranch_execnz .LBB14_63
.LBB14_68:
	s_or_b64 exec, exec, s[30:31]
	v_add_u32_e32 v5, v30, v23
	v_or_b32_e32 v5, 0x80000000, v5
	global_store_dword v[7:8], v5, off
	global_load_dwordx2 v[5:6], v15, s[64:65]
	v_sub_co_u32_e64 v7, s[26:27], v30, v3
	v_subb_co_u32_e64 v8, s[26:27], 0, v4, s[26:27]
	s_waitcnt vmcnt(0)
	v_add_co_u32_e64 v5, s[26:27], v7, v5
	v_addc_co_u32_e64 v6, s[26:27], v8, v6, s[26:27]
	ds_write_b64 v15, v[5:6]
.LBB14_69:
	s_or_b64 exec, exec, s[28:29]
	v_cmp_gt_u32_e64 s[26:27], s75, v0
	s_waitcnt lgkmcnt(0)
	s_barrier
	s_and_saveexec_b64 s[30:31], s[26:27]
	s_cbranch_execz .LBB14_71
; %bb.70:
	v_sub_u32_e32 v5, v15, v12
	ds_read_b32 v7, v5 offset:256
	v_mov_b32_e32 v8, s59
	s_waitcnt lgkmcnt(0)
	v_lshrrev_b32_e32 v5, s68, v7
	v_and_b32_e32 v5, s33, v5
	v_lshlrev_b32_e32 v5, 3, v5
	ds_read_b64 v[5:6], v5
	v_xor_b32_e32 v7, 0x7fffffff, v7
	s_waitcnt lgkmcnt(0)
	v_lshlrev_b64 v[5:6], 2, v[5:6]
	v_add_co_u32_e64 v5, s[28:29], s58, v5
	v_addc_co_u32_e64 v6, s[28:29], v8, v6, s[28:29]
	v_add_co_u32_e64 v5, s[28:29], v5, v12
	v_addc_co_u32_e64 v6, s[28:29], 0, v6, s[28:29]
	global_store_dword v[5:6], v7, off
.LBB14_71:
	s_or_b64 exec, exec, s[30:31]
	v_or_b32_e32 v5, 0x200, v0
	v_cmp_gt_u32_e64 s[28:29], s75, v5
	s_and_saveexec_b64 s[34:35], s[28:29]
	s_cbranch_execz .LBB14_73
; %bb.72:
	v_sub_u32_e32 v5, v15, v12
	ds_read_b32 v7, v5 offset:2304
	v_mov_b32_e32 v8, s59
	s_waitcnt lgkmcnt(0)
	v_lshrrev_b32_e32 v5, s68, v7
	v_and_b32_e32 v5, s33, v5
	v_lshlrev_b32_e32 v5, 3, v5
	ds_read_b64 v[5:6], v5
	v_xor_b32_e32 v7, 0x7fffffff, v7
	s_waitcnt lgkmcnt(0)
	v_lshlrev_b64 v[5:6], 2, v[5:6]
	v_add_co_u32_e64 v5, s[30:31], s58, v5
	v_addc_co_u32_e64 v6, s[30:31], v8, v6, s[30:31]
	v_add_co_u32_e64 v5, s[30:31], v5, v12
	v_addc_co_u32_e64 v6, s[30:31], 0, v6, s[30:31]
	global_store_dword v[5:6], v7, off offset:2048
.LBB14_73:
	s_or_b64 exec, exec, s[34:35]
	v_or_b32_e32 v5, 0x400, v0
	v_cmp_gt_u32_e64 s[30:31], s75, v5
	v_lshlrev_b32_e32 v7, 2, v5
	s_and_saveexec_b64 s[36:37], s[30:31]
	s_cbranch_execz .LBB14_75
; %bb.74:
	v_sub_u32_e32 v5, v15, v12
	ds_read_b32 v8, v5 offset:4352
	v_mov_b32_e32 v9, s59
	s_waitcnt lgkmcnt(0)
	v_lshrrev_b32_e32 v5, s68, v8
	v_and_b32_e32 v5, s33, v5
	v_lshlrev_b32_e32 v5, 3, v5
	ds_read_b64 v[5:6], v5
	v_xor_b32_e32 v8, 0x7fffffff, v8
	s_waitcnt lgkmcnt(0)
	v_lshlrev_b64 v[5:6], 2, v[5:6]
	v_add_co_u32_e64 v5, s[34:35], s58, v5
	v_addc_co_u32_e64 v6, s[34:35], v9, v6, s[34:35]
	v_add_co_u32_e64 v5, s[34:35], v5, v7
	v_addc_co_u32_e64 v6, s[34:35], 0, v6, s[34:35]
	global_store_dword v[5:6], v8, off
.LBB14_75:
	s_or_b64 exec, exec, s[36:37]
	v_or_b32_e32 v5, 0x600, v0
	v_cmp_gt_u32_e64 s[34:35], s75, v5
	v_lshlrev_b32_e32 v8, 2, v5
	s_and_saveexec_b64 s[38:39], s[34:35]
	s_cbranch_execz .LBB14_77
; %bb.76:
	v_sub_u32_e32 v5, v15, v12
	ds_read_b32 v9, v5 offset:6400
	v_mov_b32_e32 v10, s59
	s_waitcnt lgkmcnt(0)
	v_lshrrev_b32_e32 v5, s68, v9
	v_and_b32_e32 v5, s33, v5
	v_lshlrev_b32_e32 v5, 3, v5
	ds_read_b64 v[5:6], v5
	v_xor_b32_e32 v9, 0x7fffffff, v9
	s_waitcnt lgkmcnt(0)
	v_lshlrev_b64 v[5:6], 2, v[5:6]
	v_add_co_u32_e64 v5, s[36:37], s58, v5
	v_addc_co_u32_e64 v6, s[36:37], v10, v6, s[36:37]
	v_add_co_u32_e64 v5, s[36:37], v5, v8
	v_addc_co_u32_e64 v6, s[36:37], 0, v6, s[36:37]
	global_store_dword v[5:6], v9, off
.LBB14_77:
	;; [unrolled: 24-line block ×7, first 2 shown]
	s_or_b64 exec, exec, s[48:49]
	v_or_b32_e32 v5, 0x1200, v0
	v_cmp_gt_u32_e64 s[46:47], s75, v5
	v_lshlrev_b32_e32 v32, 2, v5
	s_and_saveexec_b64 s[50:51], s[46:47]
	s_cbranch_execz .LBB14_89
; %bb.88:
	ds_read_b32 v33, v12 offset:18688
	v_mov_b32_e32 v34, s59
	s_waitcnt lgkmcnt(0)
	v_lshrrev_b32_e32 v5, s68, v33
	v_and_b32_e32 v5, s33, v5
	v_lshlrev_b32_e32 v5, 3, v5
	ds_read_b64 v[5:6], v5
	v_xor_b32_e32 v33, 0x7fffffff, v33
	s_waitcnt lgkmcnt(0)
	v_lshlrev_b64 v[5:6], 2, v[5:6]
	v_add_co_u32_e64 v5, s[48:49], s58, v5
	v_addc_co_u32_e64 v6, s[48:49], v34, v6, s[48:49]
	v_add_co_u32_e64 v5, s[48:49], v5, v32
	v_addc_co_u32_e64 v6, s[48:49], 0, v6, s[48:49]
	global_store_dword v[5:6], v33, off
.LBB14_89:
	s_or_b64 exec, exec, s[50:51]
	v_or_b32_e32 v5, 0x1400, v0
	v_cmp_gt_u32_e64 s[48:49], s75, v5
	v_lshlrev_b32_e32 v33, 2, v5
	s_and_saveexec_b64 s[54:55], s[48:49]
	s_cbranch_execz .LBB14_91
; %bb.90:
	ds_read_b32 v34, v12 offset:20736
	v_mov_b32_e32 v35, s59
	s_waitcnt lgkmcnt(0)
	v_lshrrev_b32_e32 v5, s68, v34
	v_and_b32_e32 v5, s33, v5
	v_lshlrev_b32_e32 v5, 3, v5
	ds_read_b64 v[5:6], v5
	v_xor_b32_e32 v34, 0x7fffffff, v34
	s_waitcnt lgkmcnt(0)
	v_lshlrev_b64 v[5:6], 2, v[5:6]
	v_add_co_u32_e64 v5, s[50:51], s58, v5
	v_addc_co_u32_e64 v6, s[50:51], v35, v6, s[50:51]
	v_add_co_u32_e64 v5, s[50:51], v5, v33
	v_addc_co_u32_e64 v6, s[50:51], 0, v6, s[50:51]
	global_store_dword v[5:6], v34, off
.LBB14_91:
	;; [unrolled: 23-line block ×3, first 2 shown]
	s_or_b64 exec, exec, s[76:77]
	s_add_u32 s54, s60, s70
	s_addc_u32 s55, s61, s71
	v_mov_b32_e32 v5, s55
	v_add_co_u32_e64 v6, s[54:55], s54, v13
	v_addc_co_u32_e64 v13, s[54:55], 0, v5, s[54:55]
	v_add_co_u32_e64 v5, s[54:55], v6, v14
	v_addc_co_u32_e64 v6, s[54:55], 0, v13, s[54:55]
                                        ; implicit-def: $vgpr13
	s_and_saveexec_b64 s[54:55], vcc
	s_xor_b64 s[54:55], exec, s[54:55]
	s_cbranch_execz .LBB14_105
; %bb.94:
	global_load_dword v13, v[5:6], off
	s_or_b64 exec, exec, s[54:55]
                                        ; implicit-def: $vgpr14
	s_and_saveexec_b64 s[54:55], s[0:1]
	s_cbranch_execnz .LBB14_106
.LBB14_95:
	s_or_b64 exec, exec, s[54:55]
                                        ; implicit-def: $vgpr35
	s_and_saveexec_b64 s[0:1], s[2:3]
	s_cbranch_execz .LBB14_107
.LBB14_96:
	global_load_dword v35, v[5:6], off offset:512
	s_or_b64 exec, exec, s[0:1]
                                        ; implicit-def: $vgpr36
	s_and_saveexec_b64 s[0:1], s[52:53]
	s_cbranch_execnz .LBB14_108
.LBB14_97:
	s_or_b64 exec, exec, s[0:1]
                                        ; implicit-def: $vgpr38
	s_and_saveexec_b64 s[0:1], s[8:9]
	s_cbranch_execz .LBB14_109
.LBB14_98:
	global_load_dword v38, v[5:6], off offset:1024
	s_or_b64 exec, exec, s[0:1]
                                        ; implicit-def: $vgpr40
	s_and_saveexec_b64 s[0:1], s[10:11]
	s_cbranch_execnz .LBB14_110
.LBB14_99:
	s_or_b64 exec, exec, s[0:1]
                                        ; implicit-def: $vgpr42
	s_and_saveexec_b64 s[0:1], s[12:13]
	s_cbranch_execz .LBB14_111
.LBB14_100:
	global_load_dword v42, v[5:6], off offset:1536
	s_or_b64 exec, exec, s[0:1]
                                        ; implicit-def: $vgpr45
	s_and_saveexec_b64 s[0:1], s[14:15]
	s_cbranch_execnz .LBB14_112
.LBB14_101:
	s_or_b64 exec, exec, s[0:1]
                                        ; implicit-def: $vgpr47
	s_and_saveexec_b64 s[0:1], s[16:17]
	s_cbranch_execz .LBB14_113
.LBB14_102:
	global_load_dword v47, v[5:6], off offset:2048
	s_or_b64 exec, exec, s[0:1]
                                        ; implicit-def: $vgpr49
	s_and_saveexec_b64 s[0:1], s[18:19]
	s_cbranch_execnz .LBB14_114
.LBB14_103:
	s_or_b64 exec, exec, s[0:1]
                                        ; implicit-def: $vgpr52
	s_and_saveexec_b64 s[0:1], s[20:21]
	s_cbranch_execz .LBB14_115
.LBB14_104:
	global_load_dword v52, v[5:6], off offset:2560
	s_or_b64 exec, exec, s[0:1]
                                        ; implicit-def: $vgpr53
	s_and_saveexec_b64 s[0:1], s[22:23]
	s_cbranch_execnz .LBB14_116
	s_branch .LBB14_117
.LBB14_105:
	s_or_b64 exec, exec, s[54:55]
                                        ; implicit-def: $vgpr14
	s_and_saveexec_b64 s[54:55], s[0:1]
	s_cbranch_execz .LBB14_95
.LBB14_106:
	global_load_dword v14, v[5:6], off offset:256
	s_or_b64 exec, exec, s[54:55]
                                        ; implicit-def: $vgpr35
	s_and_saveexec_b64 s[0:1], s[2:3]
	s_cbranch_execnz .LBB14_96
.LBB14_107:
	s_or_b64 exec, exec, s[0:1]
                                        ; implicit-def: $vgpr36
	s_and_saveexec_b64 s[0:1], s[52:53]
	s_cbranch_execz .LBB14_97
.LBB14_108:
	global_load_dword v36, v[5:6], off offset:768
	s_or_b64 exec, exec, s[0:1]
                                        ; implicit-def: $vgpr38
	s_and_saveexec_b64 s[0:1], s[8:9]
	s_cbranch_execnz .LBB14_98
.LBB14_109:
	s_or_b64 exec, exec, s[0:1]
                                        ; implicit-def: $vgpr40
	s_and_saveexec_b64 s[0:1], s[10:11]
	s_cbranch_execz .LBB14_99
.LBB14_110:
	global_load_dword v40, v[5:6], off offset:1280
	s_or_b64 exec, exec, s[0:1]
                                        ; implicit-def: $vgpr42
	s_and_saveexec_b64 s[0:1], s[12:13]
	s_cbranch_execnz .LBB14_100
.LBB14_111:
	s_or_b64 exec, exec, s[0:1]
                                        ; implicit-def: $vgpr45
	s_and_saveexec_b64 s[0:1], s[14:15]
	s_cbranch_execz .LBB14_101
.LBB14_112:
	global_load_dword v45, v[5:6], off offset:1792
	s_or_b64 exec, exec, s[0:1]
                                        ; implicit-def: $vgpr47
	s_and_saveexec_b64 s[0:1], s[16:17]
	s_cbranch_execnz .LBB14_102
.LBB14_113:
	s_or_b64 exec, exec, s[0:1]
                                        ; implicit-def: $vgpr49
	s_and_saveexec_b64 s[0:1], s[18:19]
	s_cbranch_execz .LBB14_103
.LBB14_114:
	global_load_dword v49, v[5:6], off offset:2304
	s_or_b64 exec, exec, s[0:1]
                                        ; implicit-def: $vgpr52
	s_and_saveexec_b64 s[0:1], s[20:21]
	s_cbranch_execnz .LBB14_104
.LBB14_115:
	s_or_b64 exec, exec, s[0:1]
                                        ; implicit-def: $vgpr53
	s_and_saveexec_b64 s[0:1], s[22:23]
	s_cbranch_execz .LBB14_117
.LBB14_116:
	global_load_dword v53, v[5:6], off offset:2816
.LBB14_117:
	s_or_b64 exec, exec, s[0:1]
	v_mov_b32_e32 v50, 0
	v_mov_b32_e32 v54, 0
	s_and_saveexec_b64 s[0:1], s[26:27]
	s_cbranch_execz .LBB14_119
; %bb.118:
	ds_read_b32 v5, v12 offset:256
	s_waitcnt lgkmcnt(0)
	v_lshrrev_b32_e32 v5, s68, v5
	v_and_b32_e32 v54, s33, v5
.LBB14_119:
	s_or_b64 exec, exec, s[0:1]
	s_and_saveexec_b64 s[0:1], s[28:29]
	s_cbranch_execz .LBB14_121
; %bb.120:
	ds_read_b32 v5, v12 offset:2304
	s_waitcnt lgkmcnt(0)
	v_lshrrev_b32_e32 v5, s68, v5
	v_and_b32_e32 v50, s33, v5
.LBB14_121:
	s_or_b64 exec, exec, s[0:1]
	v_mov_b32_e32 v46, 0
	v_mov_b32_e32 v51, 0
	s_and_saveexec_b64 s[0:1], s[30:31]
	s_cbranch_execz .LBB14_123
; %bb.122:
	ds_read_b32 v5, v12 offset:4352
	s_waitcnt lgkmcnt(0)
	v_lshrrev_b32_e32 v5, s68, v5
	v_and_b32_e32 v51, s33, v5
.LBB14_123:
	s_or_b64 exec, exec, s[0:1]
	s_and_saveexec_b64 s[0:1], s[34:35]
	s_cbranch_execz .LBB14_125
; %bb.124:
	ds_read_b32 v5, v12 offset:6400
	s_waitcnt lgkmcnt(0)
	v_lshrrev_b32_e32 v5, s68, v5
	v_and_b32_e32 v46, s33, v5
.LBB14_125:
	;; [unrolled: 20-line block ×6, first 2 shown]
	s_or_b64 exec, exec, s[0:1]
	s_waitcnt vmcnt(0)
	s_barrier
	ds_write_b32 v24, v13 offset:256
	ds_write_b32 v25, v14 offset:256
	;; [unrolled: 1-line block ×12, first 2 shown]
	s_waitcnt lgkmcnt(0)
	s_barrier
	s_and_saveexec_b64 s[0:1], s[26:27]
	s_cbranch_execz .LBB14_153
; %bb.142:
	v_lshlrev_b32_e32 v13, 3, v54
	ds_read_b64 v[13:14], v13
	ds_read_b32 v16, v12 offset:256
	v_mov_b32_e32 v17, s63
	s_waitcnt lgkmcnt(1)
	v_lshlrev_b64 v[13:14], 2, v[13:14]
	v_add_co_u32_e32 v13, vcc, s62, v13
	v_addc_co_u32_e32 v14, vcc, v17, v14, vcc
	v_add_co_u32_e32 v13, vcc, v13, v12
	v_addc_co_u32_e32 v14, vcc, 0, v14, vcc
	s_waitcnt lgkmcnt(0)
	global_store_dword v[13:14], v16, off
	s_or_b64 exec, exec, s[0:1]
	s_and_saveexec_b64 s[0:1], s[28:29]
	s_cbranch_execnz .LBB14_154
.LBB14_143:
	s_or_b64 exec, exec, s[0:1]
	s_and_saveexec_b64 s[0:1], s[30:31]
	s_cbranch_execz .LBB14_155
.LBB14_144:
	v_lshlrev_b32_e32 v13, 3, v51
	ds_read_b64 v[13:14], v13
	ds_read_b32 v16, v12 offset:4352
	v_mov_b32_e32 v17, s63
	s_waitcnt lgkmcnt(1)
	v_lshlrev_b64 v[13:14], 2, v[13:14]
	v_add_co_u32_e32 v13, vcc, s62, v13
	v_addc_co_u32_e32 v14, vcc, v17, v14, vcc
	v_add_co_u32_e32 v13, vcc, v13, v7
	v_addc_co_u32_e32 v14, vcc, 0, v14, vcc
	s_waitcnt lgkmcnt(0)
	global_store_dword v[13:14], v16, off
	s_or_b64 exec, exec, s[0:1]
	s_and_saveexec_b64 s[0:1], s[34:35]
	s_cbranch_execnz .LBB14_156
.LBB14_145:
	s_or_b64 exec, exec, s[0:1]
	s_and_saveexec_b64 s[0:1], s[36:37]
	s_cbranch_execz .LBB14_157
.LBB14_146:
	v_lshlrev_b32_e32 v7, 3, v48
	ds_read_b64 v[7:8], v7
	ds_read_b32 v13, v12 offset:8448
	v_mov_b32_e32 v14, s63
	s_waitcnt lgkmcnt(1)
	v_lshlrev_b64 v[7:8], 2, v[7:8]
	v_add_co_u32_e32 v7, vcc, s62, v7
	v_addc_co_u32_e32 v8, vcc, v14, v8, vcc
	v_add_co_u32_e32 v7, vcc, v7, v9
	v_addc_co_u32_e32 v8, vcc, 0, v8, vcc
	s_waitcnt lgkmcnt(0)
	global_store_dword v[7:8], v13, off
	s_or_b64 exec, exec, s[0:1]
	s_and_saveexec_b64 s[0:1], s[38:39]
	s_cbranch_execnz .LBB14_158
.LBB14_147:
	s_or_b64 exec, exec, s[0:1]
	s_and_saveexec_b64 s[0:1], s[40:41]
	s_cbranch_execz .LBB14_159
.LBB14_148:
	v_lshlrev_b32_e32 v7, 3, v44
	ds_read_b64 v[7:8], v7
	ds_read_b32 v9, v12 offset:12544
	v_mov_b32_e32 v10, s63
	s_waitcnt lgkmcnt(1)
	v_lshlrev_b64 v[7:8], 2, v[7:8]
	v_add_co_u32_e32 v7, vcc, s62, v7
	v_addc_co_u32_e32 v8, vcc, v10, v8, vcc
	v_add_co_u32_e32 v7, vcc, v7, v21
	v_addc_co_u32_e32 v8, vcc, 0, v8, vcc
	s_waitcnt lgkmcnt(0)
	global_store_dword v[7:8], v9, off
	s_or_b64 exec, exec, s[0:1]
	s_and_saveexec_b64 s[0:1], s[42:43]
	s_cbranch_execnz .LBB14_160
.LBB14_149:
	s_or_b64 exec, exec, s[0:1]
	s_and_saveexec_b64 s[0:1], s[44:45]
	s_cbranch_execz .LBB14_161
.LBB14_150:
	v_lshlrev_b32_e32 v7, 3, v41
	ds_read_b64 v[7:8], v7
	ds_read_b32 v9, v12 offset:16640
	v_mov_b32_e32 v10, s63
	s_waitcnt lgkmcnt(1)
	v_lshlrev_b64 v[7:8], 2, v[7:8]
	v_add_co_u32_e32 v7, vcc, s62, v7
	v_addc_co_u32_e32 v8, vcc, v10, v8, vcc
	v_add_co_u32_e32 v7, vcc, v7, v31
	v_addc_co_u32_e32 v8, vcc, 0, v8, vcc
	s_waitcnt lgkmcnt(0)
	global_store_dword v[7:8], v9, off
	s_or_b64 exec, exec, s[0:1]
	s_and_saveexec_b64 s[0:1], s[46:47]
	s_cbranch_execnz .LBB14_162
.LBB14_151:
	s_or_b64 exec, exec, s[0:1]
	s_and_saveexec_b64 s[0:1], s[48:49]
	s_cbranch_execz .LBB14_163
.LBB14_152:
	v_lshlrev_b32_e32 v6, 3, v37
	ds_read_b64 v[6:7], v6
	ds_read_b32 v8, v12 offset:20736
	v_mov_b32_e32 v9, s63
	s_waitcnt lgkmcnt(1)
	v_lshlrev_b64 v[6:7], 2, v[6:7]
	v_add_co_u32_e32 v6, vcc, s62, v6
	v_addc_co_u32_e32 v7, vcc, v9, v7, vcc
	v_add_co_u32_e32 v6, vcc, v6, v33
	v_addc_co_u32_e32 v7, vcc, 0, v7, vcc
	s_waitcnt lgkmcnt(0)
	global_store_dword v[6:7], v8, off
	s_or_b64 exec, exec, s[0:1]
	s_and_saveexec_b64 s[0:1], s[50:51]
	s_cbranch_execnz .LBB14_164
	s_branch .LBB14_165
.LBB14_153:
	s_or_b64 exec, exec, s[0:1]
	s_and_saveexec_b64 s[0:1], s[28:29]
	s_cbranch_execz .LBB14_143
.LBB14_154:
	v_lshlrev_b32_e32 v13, 3, v50
	ds_read_b64 v[13:14], v13
	ds_read_b32 v16, v12 offset:2304
	v_mov_b32_e32 v17, s63
	s_waitcnt lgkmcnt(1)
	v_lshlrev_b64 v[13:14], 2, v[13:14]
	v_add_co_u32_e32 v13, vcc, s62, v13
	v_addc_co_u32_e32 v14, vcc, v17, v14, vcc
	v_add_co_u32_e32 v13, vcc, v13, v12
	v_addc_co_u32_e32 v14, vcc, 0, v14, vcc
	s_waitcnt lgkmcnt(0)
	global_store_dword v[13:14], v16, off offset:2048
	s_or_b64 exec, exec, s[0:1]
	s_and_saveexec_b64 s[0:1], s[30:31]
	s_cbranch_execnz .LBB14_144
.LBB14_155:
	s_or_b64 exec, exec, s[0:1]
	s_and_saveexec_b64 s[0:1], s[34:35]
	s_cbranch_execz .LBB14_145
.LBB14_156:
	v_lshlrev_b32_e32 v7, 3, v46
	ds_read_b64 v[13:14], v7
	ds_read_b32 v16, v12 offset:6400
	v_mov_b32_e32 v7, s63
	s_waitcnt lgkmcnt(1)
	v_lshlrev_b64 v[13:14], 2, v[13:14]
	v_add_co_u32_e32 v13, vcc, s62, v13
	v_addc_co_u32_e32 v14, vcc, v7, v14, vcc
	v_add_co_u32_e32 v7, vcc, v13, v8
	v_addc_co_u32_e32 v8, vcc, 0, v14, vcc
	s_waitcnt lgkmcnt(0)
	global_store_dword v[7:8], v16, off
	s_or_b64 exec, exec, s[0:1]
	s_and_saveexec_b64 s[0:1], s[36:37]
	s_cbranch_execnz .LBB14_146
.LBB14_157:
	s_or_b64 exec, exec, s[0:1]
	s_and_saveexec_b64 s[0:1], s[38:39]
	s_cbranch_execz .LBB14_147
.LBB14_158:
	v_lshlrev_b32_e32 v7, 3, v43
	ds_read_b64 v[7:8], v7
	ds_read_b32 v9, v12 offset:10496
	v_mov_b32_e32 v13, s63
	s_waitcnt lgkmcnt(1)
	v_lshlrev_b64 v[7:8], 2, v[7:8]
	v_add_co_u32_e32 v7, vcc, s62, v7
	v_addc_co_u32_e32 v8, vcc, v13, v8, vcc
	v_add_co_u32_e32 v7, vcc, v7, v10
	v_addc_co_u32_e32 v8, vcc, 0, v8, vcc
	s_waitcnt lgkmcnt(0)
	global_store_dword v[7:8], v9, off
	s_or_b64 exec, exec, s[0:1]
	s_and_saveexec_b64 s[0:1], s[40:41]
	s_cbranch_execnz .LBB14_148
.LBB14_159:
	s_or_b64 exec, exec, s[0:1]
	s_and_saveexec_b64 s[0:1], s[42:43]
	s_cbranch_execz .LBB14_149
.LBB14_160:
	v_lshlrev_b32_e32 v7, 3, v39
	ds_read_b64 v[7:8], v7
	ds_read_b32 v9, v12 offset:14592
	v_mov_b32_e32 v10, s63
	s_waitcnt lgkmcnt(1)
	v_lshlrev_b64 v[7:8], 2, v[7:8]
	v_add_co_u32_e32 v7, vcc, s62, v7
	v_addc_co_u32_e32 v8, vcc, v10, v8, vcc
	v_add_co_u32_e32 v7, vcc, v7, v30
	v_addc_co_u32_e32 v8, vcc, 0, v8, vcc
	s_waitcnt lgkmcnt(0)
	global_store_dword v[7:8], v9, off
	s_or_b64 exec, exec, s[0:1]
	s_and_saveexec_b64 s[0:1], s[44:45]
	s_cbranch_execnz .LBB14_150
.LBB14_161:
	s_or_b64 exec, exec, s[0:1]
	s_and_saveexec_b64 s[0:1], s[46:47]
	s_cbranch_execz .LBB14_151
.LBB14_162:
	v_lshlrev_b32_e32 v6, 3, v6
	ds_read_b64 v[6:7], v6
	ds_read_b32 v8, v12 offset:18688
	v_mov_b32_e32 v9, s63
	s_waitcnt lgkmcnt(1)
	v_lshlrev_b64 v[6:7], 2, v[6:7]
	v_add_co_u32_e32 v6, vcc, s62, v6
	v_addc_co_u32_e32 v7, vcc, v9, v7, vcc
	v_add_co_u32_e32 v6, vcc, v6, v32
	v_addc_co_u32_e32 v7, vcc, 0, v7, vcc
	s_waitcnt lgkmcnt(0)
	global_store_dword v[6:7], v8, off
	s_or_b64 exec, exec, s[0:1]
	s_and_saveexec_b64 s[0:1], s[48:49]
	s_cbranch_execnz .LBB14_152
.LBB14_163:
	s_or_b64 exec, exec, s[0:1]
	s_and_saveexec_b64 s[0:1], s[50:51]
	s_cbranch_execz .LBB14_165
.LBB14_164:
	v_lshlrev_b32_e32 v5, 3, v5
	ds_read_b64 v[5:6], v5
	ds_read_b32 v7, v12 offset:22784
	v_mov_b32_e32 v8, s63
	s_waitcnt lgkmcnt(1)
	v_lshlrev_b64 v[5:6], 2, v[5:6]
	v_add_co_u32_e32 v5, vcc, s62, v5
	v_addc_co_u32_e32 v6, vcc, v8, v6, vcc
	v_add_co_u32_e32 v5, vcc, v5, v34
	v_addc_co_u32_e32 v6, vcc, 0, v6, vcc
	s_waitcnt lgkmcnt(0)
	global_store_dword v[5:6], v7, off
.LBB14_165:
	s_or_b64 exec, exec, s[0:1]
	s_add_i32 s7, s7, -1
	s_cmp_eq_u32 s6, s7
	s_cselect_b64 s[0:1], -1, 0
	s_xor_b64 s[2:3], s[24:25], -1
	s_and_b64 s[2:3], s[2:3], s[0:1]
	s_and_saveexec_b64 s[0:1], s[2:3]
	s_cbranch_execz .LBB14_167
; %bb.166:
	ds_read_b64 v[5:6], v15
	v_add_co_u32_e32 v3, vcc, v3, v23
	v_addc_co_u32_e32 v4, vcc, 0, v4, vcc
	s_waitcnt lgkmcnt(0)
	v_add_co_u32_e32 v3, vcc, v3, v5
	v_addc_co_u32_e32 v4, vcc, v4, v6, vcc
	global_store_dwordx2 v15, v[3:4], s[66:67]
.LBB14_167:
	s_or_b64 exec, exec, s[0:1]
	s_mov_b64 s[0:1], 0
.LBB14_168:
	s_and_b64 vcc, exec, s[0:1]
	s_cbranch_vccz .LBB14_215
; %bb.169:
	s_mov_b32 s75, 0
	s_lshl_b64 s[8:9], s[74:75], 2
	s_add_u32 s0, s56, s8
	v_mbcnt_hi_u32_b32 v5, -1, v11
	s_addc_u32 s1, s57, s9
	v_and_b32_e32 v7, 0x1c0, v0
	v_lshlrev_b32_e32 v10, 2, v5
	v_mul_u32_u24_e32 v4, 12, v7
	v_mov_b32_e32 v6, s1
	v_add_co_u32_e32 v8, vcc, s0, v10
	v_addc_co_u32_e32 v6, vcc, 0, v6, vcc
	v_lshlrev_b32_e32 v11, 2, v4
	v_add_co_u32_e32 v8, vcc, v8, v11
	v_addc_co_u32_e32 v9, vcc, 0, v6, vcc
	s_load_dword s7, s[4:5], 0x50
	s_load_dword s0, s[4:5], 0x5c
	global_load_dword v4, v[8:9], off
	s_add_u32 s1, s4, 0x50
	s_addc_u32 s2, s5, 0
	v_mov_b32_e32 v3, 0
	s_waitcnt lgkmcnt(0)
	s_lshr_b32 s3, s0, 16
	s_cmp_lt_u32 s6, s7
	s_cselect_b32 s0, 12, 18
	s_add_u32 s0, s1, s0
	s_addc_u32 s1, s2, 0
	global_load_ushort v13, v3, s[0:1]
	global_load_dword v12, v[8:9], off offset:256
	global_load_dword v15, v[8:9], off offset:512
	;; [unrolled: 1-line block ×11, first 2 shown]
	s_lshl_b32 s0, -1, s69
	v_mad_u32_u24 v1, v2, s3, v1
	s_not_b32 s14, s0
	v_lshlrev_b32_e32 v9, 2, v0
	ds_write_b32 v9, v3 offset:32
	s_waitcnt vmcnt(0) lgkmcnt(0)
	s_barrier
	; wave barrier
	v_xor_b32_e32 v6, 0x7fffffff, v4
	v_lshrrev_b32_e32 v2, s68, v6
	v_and_b32_e32 v8, s14, v2
	v_mad_u64_u32 v[1:2], s[0:1], v1, v13, v[0:1]
	v_and_b32_e32 v13, 1, v8
	v_add_co_u32_e32 v14, vcc, -1, v13
	v_lshlrev_b32_e32 v4, 30, v8
	v_addc_co_u32_e64 v16, s[0:1], 0, -1, vcc
	v_mul_lo_u32 v2, v8, 36
	v_cmp_ne_u32_e32 vcc, 0, v13
	v_cmp_gt_i64_e64 s[0:1], 0, v[3:4]
	v_not_b32_e32 v13, v4
	v_lshlrev_b32_e32 v4, 29, v8
	v_xor_b32_e32 v16, vcc_hi, v16
	v_xor_b32_e32 v14, vcc_lo, v14
	v_ashrrev_i32_e32 v13, 31, v13
	v_cmp_gt_i64_e32 vcc, 0, v[3:4]
	v_not_b32_e32 v17, v4
	v_lshlrev_b32_e32 v4, 28, v8
	v_and_b32_e32 v16, exec_hi, v16
	v_and_b32_e32 v14, exec_lo, v14
	v_xor_b32_e32 v19, s1, v13
	v_xor_b32_e32 v13, s0, v13
	v_ashrrev_i32_e32 v17, 31, v17
	v_cmp_gt_i64_e64 s[0:1], 0, v[3:4]
	v_not_b32_e32 v21, v4
	v_lshlrev_b32_e32 v4, 27, v8
	v_lshrrev_b32_e32 v23, 6, v1
	v_and_b32_e32 v1, v16, v19
	v_and_b32_e32 v8, v14, v13
	v_xor_b32_e32 v13, vcc_hi, v17
	v_xor_b32_e32 v16, vcc_lo, v17
	v_ashrrev_i32_e32 v17, 31, v21
	v_cmp_gt_i64_e32 vcc, 0, v[3:4]
	v_not_b32_e32 v4, v4
	v_lshl_add_u32 v14, v23, 2, v2
	v_and_b32_e32 v1, v1, v13
	v_and_b32_e32 v2, v8, v16
	v_xor_b32_e32 v8, s1, v17
	v_xor_b32_e32 v13, s0, v17
	v_ashrrev_i32_e32 v4, 31, v4
	v_and_b32_e32 v1, v1, v8
	v_and_b32_e32 v8, v2, v13
	v_xor_b32_e32 v2, vcc_hi, v4
	v_xor_b32_e32 v4, vcc_lo, v4
	v_and_b32_e32 v2, v1, v2
	v_and_b32_e32 v1, v8, v4
	v_mbcnt_lo_u32_b32 v4, v1, 0
	v_mbcnt_hi_u32_b32 v8, v2, v4
	v_cmp_ne_u64_e32 vcc, 0, v[1:2]
	v_cmp_eq_u32_e64 s[0:1], 0, v8
	s_and_b64 s[2:3], vcc, s[0:1]
	s_and_saveexec_b64 s[0:1], s[2:3]
; %bb.170:
	v_bcnt_u32_b32 v1, v1, 0
	v_bcnt_u32_b32 v1, v2, v1
	ds_write_b32 v14, v1 offset:32
; %bb.171:
	s_or_b64 exec, exec, s[0:1]
	v_xor_b32_e32 v12, 0x7fffffff, v12
	v_lshrrev_b32_e32 v1, s68, v12
	v_and_b32_e32 v1, s14, v1
	v_mul_lo_u32 v2, v1, 36
	v_and_b32_e32 v4, 1, v1
	; wave barrier
	v_lshl_add_u32 v16, v23, 2, v2
	v_add_co_u32_e32 v2, vcc, -1, v4
	v_addc_co_u32_e64 v17, s[0:1], 0, -1, vcc
	v_cmp_ne_u32_e32 vcc, 0, v4
	v_xor_b32_e32 v4, vcc_hi, v17
	v_and_b32_e32 v17, exec_hi, v4
	v_lshlrev_b32_e32 v4, 30, v1
	v_xor_b32_e32 v2, vcc_lo, v2
	v_cmp_gt_i64_e32 vcc, 0, v[3:4]
	v_not_b32_e32 v4, v4
	v_ashrrev_i32_e32 v4, 31, v4
	v_and_b32_e32 v2, exec_lo, v2
	v_xor_b32_e32 v19, vcc_hi, v4
	v_xor_b32_e32 v4, vcc_lo, v4
	v_and_b32_e32 v2, v2, v4
	v_lshlrev_b32_e32 v4, 29, v1
	v_cmp_gt_i64_e32 vcc, 0, v[3:4]
	v_not_b32_e32 v4, v4
	v_ashrrev_i32_e32 v4, 31, v4
	v_and_b32_e32 v17, v17, v19
	v_xor_b32_e32 v19, vcc_hi, v4
	v_xor_b32_e32 v4, vcc_lo, v4
	v_and_b32_e32 v2, v2, v4
	v_lshlrev_b32_e32 v4, 28, v1
	v_cmp_gt_i64_e32 vcc, 0, v[3:4]
	v_not_b32_e32 v4, v4
	v_ashrrev_i32_e32 v4, 31, v4
	v_and_b32_e32 v17, v17, v19
	v_xor_b32_e32 v19, vcc_hi, v4
	v_xor_b32_e32 v4, vcc_lo, v4
	v_and_b32_e32 v17, v17, v19
	v_and_b32_e32 v19, v2, v4
	v_lshlrev_b32_e32 v4, 27, v1
	v_cmp_gt_i64_e32 vcc, 0, v[3:4]
	v_not_b32_e32 v1, v4
	v_ashrrev_i32_e32 v1, 31, v1
	v_xor_b32_e32 v2, vcc_hi, v1
	v_xor_b32_e32 v1, vcc_lo, v1
	ds_read_b32 v13, v16 offset:32
	v_and_b32_e32 v1, v19, v1
	v_and_b32_e32 v2, v17, v2
	v_mbcnt_lo_u32_b32 v3, v1, 0
	v_mbcnt_hi_u32_b32 v4, v2, v3
	v_cmp_ne_u64_e32 vcc, 0, v[1:2]
	v_cmp_eq_u32_e64 s[0:1], 0, v4
	s_and_b64 s[2:3], vcc, s[0:1]
	; wave barrier
	s_and_saveexec_b64 s[0:1], s[2:3]
	s_cbranch_execz .LBB14_173
; %bb.172:
	v_bcnt_u32_b32 v1, v1, 0
	v_bcnt_u32_b32 v1, v2, v1
	s_waitcnt lgkmcnt(0)
	v_add_u32_e32 v1, v13, v1
	ds_write_b32 v16, v1 offset:32
.LBB14_173:
	s_or_b64 exec, exec, s[0:1]
	v_xor_b32_e32 v15, 0x7fffffff, v15
	v_lshrrev_b32_e32 v1, s68, v15
	v_and_b32_e32 v3, s14, v1
	v_mul_lo_u32 v1, v3, 36
	v_and_b32_e32 v2, 1, v3
	v_add_co_u32_e32 v19, vcc, -1, v2
	v_addc_co_u32_e64 v22, s[0:1], 0, -1, vcc
	v_cmp_ne_u32_e32 vcc, 0, v2
	v_xor_b32_e32 v2, vcc_hi, v22
	v_lshl_add_u32 v21, v23, 2, v1
	v_mov_b32_e32 v1, 0
	v_and_b32_e32 v22, exec_hi, v2
	v_lshlrev_b32_e32 v2, 30, v3
	v_xor_b32_e32 v19, vcc_lo, v19
	v_cmp_gt_i64_e32 vcc, 0, v[1:2]
	v_not_b32_e32 v2, v2
	v_ashrrev_i32_e32 v2, 31, v2
	v_and_b32_e32 v19, exec_lo, v19
	v_xor_b32_e32 v25, vcc_hi, v2
	v_xor_b32_e32 v2, vcc_lo, v2
	v_and_b32_e32 v19, v19, v2
	v_lshlrev_b32_e32 v2, 29, v3
	v_cmp_gt_i64_e32 vcc, 0, v[1:2]
	v_not_b32_e32 v2, v2
	v_ashrrev_i32_e32 v2, 31, v2
	v_and_b32_e32 v22, v22, v25
	v_xor_b32_e32 v25, vcc_hi, v2
	v_xor_b32_e32 v2, vcc_lo, v2
	v_and_b32_e32 v19, v19, v2
	v_lshlrev_b32_e32 v2, 28, v3
	v_cmp_gt_i64_e32 vcc, 0, v[1:2]
	v_not_b32_e32 v2, v2
	v_ashrrev_i32_e32 v2, 31, v2
	v_and_b32_e32 v22, v22, v25
	v_xor_b32_e32 v25, vcc_hi, v2
	v_xor_b32_e32 v2, vcc_lo, v2
	v_and_b32_e32 v19, v19, v2
	v_lshlrev_b32_e32 v2, 27, v3
	v_cmp_gt_i64_e32 vcc, 0, v[1:2]
	v_not_b32_e32 v2, v2
	v_ashrrev_i32_e32 v2, 31, v2
	v_xor_b32_e32 v3, vcc_hi, v2
	v_xor_b32_e32 v2, vcc_lo, v2
	; wave barrier
	ds_read_b32 v17, v21 offset:32
	v_and_b32_e32 v22, v22, v25
	v_and_b32_e32 v2, v19, v2
	;; [unrolled: 1-line block ×3, first 2 shown]
	v_mbcnt_lo_u32_b32 v19, v2, 0
	v_mbcnt_hi_u32_b32 v19, v3, v19
	v_cmp_ne_u64_e32 vcc, 0, v[2:3]
	v_cmp_eq_u32_e64 s[0:1], 0, v19
	s_and_b64 s[2:3], vcc, s[0:1]
	; wave barrier
	s_and_saveexec_b64 s[0:1], s[2:3]
	s_cbranch_execz .LBB14_175
; %bb.174:
	v_bcnt_u32_b32 v2, v2, 0
	v_bcnt_u32_b32 v2, v3, v2
	s_waitcnt lgkmcnt(0)
	v_add_u32_e32 v2, v17, v2
	ds_write_b32 v21, v2 offset:32
.LBB14_175:
	s_or_b64 exec, exec, s[0:1]
	v_xor_b32_e32 v20, 0x7fffffff, v20
	v_lshrrev_b32_e32 v2, s68, v20
	v_and_b32_e32 v3, s14, v2
	v_mul_lo_u32 v2, v3, 36
	v_and_b32_e32 v25, 1, v3
	; wave barrier
	v_lshl_add_u32 v27, v23, 2, v2
	v_add_co_u32_e32 v2, vcc, -1, v25
	v_addc_co_u32_e64 v28, s[0:1], 0, -1, vcc
	v_cmp_ne_u32_e32 vcc, 0, v25
	v_xor_b32_e32 v2, vcc_lo, v2
	v_xor_b32_e32 v25, vcc_hi, v28
	v_and_b32_e32 v28, exec_lo, v2
	v_lshlrev_b32_e32 v2, 30, v3
	v_cmp_gt_i64_e32 vcc, 0, v[1:2]
	v_not_b32_e32 v2, v2
	v_ashrrev_i32_e32 v2, 31, v2
	v_xor_b32_e32 v30, vcc_hi, v2
	v_xor_b32_e32 v2, vcc_lo, v2
	v_and_b32_e32 v28, v28, v2
	v_lshlrev_b32_e32 v2, 29, v3
	v_cmp_gt_i64_e32 vcc, 0, v[1:2]
	v_not_b32_e32 v2, v2
	v_and_b32_e32 v25, exec_hi, v25
	v_ashrrev_i32_e32 v2, 31, v2
	v_and_b32_e32 v25, v25, v30
	v_xor_b32_e32 v30, vcc_hi, v2
	v_xor_b32_e32 v2, vcc_lo, v2
	v_and_b32_e32 v28, v28, v2
	v_lshlrev_b32_e32 v2, 28, v3
	v_cmp_gt_i64_e32 vcc, 0, v[1:2]
	v_not_b32_e32 v2, v2
	v_ashrrev_i32_e32 v2, 31, v2
	v_and_b32_e32 v25, v25, v30
	v_xor_b32_e32 v30, vcc_hi, v2
	v_xor_b32_e32 v2, vcc_lo, v2
	v_and_b32_e32 v28, v28, v2
	v_lshlrev_b32_e32 v2, 27, v3
	v_cmp_gt_i64_e32 vcc, 0, v[1:2]
	v_not_b32_e32 v1, v2
	v_ashrrev_i32_e32 v1, 31, v1
	v_xor_b32_e32 v2, vcc_hi, v1
	v_xor_b32_e32 v1, vcc_lo, v1
	ds_read_b32 v22, v27 offset:32
	v_and_b32_e32 v25, v25, v30
	v_and_b32_e32 v1, v28, v1
	;; [unrolled: 1-line block ×3, first 2 shown]
	v_mbcnt_lo_u32_b32 v3, v1, 0
	v_mbcnt_hi_u32_b32 v25, v2, v3
	v_cmp_ne_u64_e32 vcc, 0, v[1:2]
	v_cmp_eq_u32_e64 s[0:1], 0, v25
	s_and_b64 s[2:3], vcc, s[0:1]
	; wave barrier
	s_and_saveexec_b64 s[0:1], s[2:3]
	s_cbranch_execz .LBB14_177
; %bb.176:
	v_bcnt_u32_b32 v1, v1, 0
	v_bcnt_u32_b32 v1, v2, v1
	s_waitcnt lgkmcnt(0)
	v_add_u32_e32 v1, v22, v1
	ds_write_b32 v27, v1 offset:32
.LBB14_177:
	s_or_b64 exec, exec, s[0:1]
	v_xor_b32_e32 v26, 0x7fffffff, v26
	v_lshrrev_b32_e32 v1, s68, v26
	v_and_b32_e32 v3, s14, v1
	v_mul_lo_u32 v1, v3, 36
	v_and_b32_e32 v2, 1, v3
	v_add_co_u32_e32 v30, vcc, -1, v2
	v_addc_co_u32_e64 v33, s[0:1], 0, -1, vcc
	v_cmp_ne_u32_e32 vcc, 0, v2
	v_xor_b32_e32 v2, vcc_hi, v33
	v_lshl_add_u32 v32, v23, 2, v1
	v_mov_b32_e32 v1, 0
	v_and_b32_e32 v33, exec_hi, v2
	v_lshlrev_b32_e32 v2, 30, v3
	v_xor_b32_e32 v30, vcc_lo, v30
	v_cmp_gt_i64_e32 vcc, 0, v[1:2]
	v_not_b32_e32 v2, v2
	v_ashrrev_i32_e32 v2, 31, v2
	v_and_b32_e32 v30, exec_lo, v30
	v_xor_b32_e32 v35, vcc_hi, v2
	v_xor_b32_e32 v2, vcc_lo, v2
	v_and_b32_e32 v30, v30, v2
	v_lshlrev_b32_e32 v2, 29, v3
	v_cmp_gt_i64_e32 vcc, 0, v[1:2]
	v_not_b32_e32 v2, v2
	v_ashrrev_i32_e32 v2, 31, v2
	v_and_b32_e32 v33, v33, v35
	v_xor_b32_e32 v35, vcc_hi, v2
	v_xor_b32_e32 v2, vcc_lo, v2
	v_and_b32_e32 v30, v30, v2
	v_lshlrev_b32_e32 v2, 28, v3
	v_cmp_gt_i64_e32 vcc, 0, v[1:2]
	v_not_b32_e32 v2, v2
	v_ashrrev_i32_e32 v2, 31, v2
	v_and_b32_e32 v33, v33, v35
	v_xor_b32_e32 v35, vcc_hi, v2
	v_xor_b32_e32 v2, vcc_lo, v2
	v_and_b32_e32 v30, v30, v2
	v_lshlrev_b32_e32 v2, 27, v3
	v_cmp_gt_i64_e32 vcc, 0, v[1:2]
	v_not_b32_e32 v2, v2
	v_ashrrev_i32_e32 v2, 31, v2
	v_xor_b32_e32 v3, vcc_hi, v2
	v_xor_b32_e32 v2, vcc_lo, v2
	; wave barrier
	ds_read_b32 v28, v32 offset:32
	v_and_b32_e32 v33, v33, v35
	v_and_b32_e32 v2, v30, v2
	;; [unrolled: 1-line block ×3, first 2 shown]
	v_mbcnt_lo_u32_b32 v30, v2, 0
	v_mbcnt_hi_u32_b32 v30, v3, v30
	v_cmp_ne_u64_e32 vcc, 0, v[2:3]
	v_cmp_eq_u32_e64 s[0:1], 0, v30
	s_and_b64 s[2:3], vcc, s[0:1]
	; wave barrier
	s_and_saveexec_b64 s[0:1], s[2:3]
	s_cbranch_execz .LBB14_179
; %bb.178:
	v_bcnt_u32_b32 v2, v2, 0
	v_bcnt_u32_b32 v2, v3, v2
	s_waitcnt lgkmcnt(0)
	v_add_u32_e32 v2, v28, v2
	ds_write_b32 v32, v2 offset:32
.LBB14_179:
	s_or_b64 exec, exec, s[0:1]
	v_xor_b32_e32 v31, 0x7fffffff, v31
	v_lshrrev_b32_e32 v2, s68, v31
	v_and_b32_e32 v3, s14, v2
	v_mul_lo_u32 v2, v3, 36
	v_and_b32_e32 v35, 1, v3
	; wave barrier
	v_lshl_add_u32 v37, v23, 2, v2
	v_add_co_u32_e32 v2, vcc, -1, v35
	v_addc_co_u32_e64 v38, s[0:1], 0, -1, vcc
	v_cmp_ne_u32_e32 vcc, 0, v35
	v_xor_b32_e32 v2, vcc_lo, v2
	v_xor_b32_e32 v35, vcc_hi, v38
	v_and_b32_e32 v38, exec_lo, v2
	v_lshlrev_b32_e32 v2, 30, v3
	v_cmp_gt_i64_e32 vcc, 0, v[1:2]
	v_not_b32_e32 v2, v2
	v_ashrrev_i32_e32 v2, 31, v2
	v_xor_b32_e32 v39, vcc_hi, v2
	v_xor_b32_e32 v2, vcc_lo, v2
	v_and_b32_e32 v38, v38, v2
	v_lshlrev_b32_e32 v2, 29, v3
	v_cmp_gt_i64_e32 vcc, 0, v[1:2]
	v_not_b32_e32 v2, v2
	v_and_b32_e32 v35, exec_hi, v35
	v_ashrrev_i32_e32 v2, 31, v2
	v_and_b32_e32 v35, v35, v39
	v_xor_b32_e32 v39, vcc_hi, v2
	v_xor_b32_e32 v2, vcc_lo, v2
	v_and_b32_e32 v38, v38, v2
	v_lshlrev_b32_e32 v2, 28, v3
	v_cmp_gt_i64_e32 vcc, 0, v[1:2]
	v_not_b32_e32 v2, v2
	v_ashrrev_i32_e32 v2, 31, v2
	v_and_b32_e32 v35, v35, v39
	v_xor_b32_e32 v39, vcc_hi, v2
	v_xor_b32_e32 v2, vcc_lo, v2
	v_and_b32_e32 v38, v38, v2
	v_lshlrev_b32_e32 v2, 27, v3
	v_cmp_gt_i64_e32 vcc, 0, v[1:2]
	v_not_b32_e32 v1, v2
	v_ashrrev_i32_e32 v1, 31, v1
	v_xor_b32_e32 v2, vcc_hi, v1
	v_xor_b32_e32 v1, vcc_lo, v1
	ds_read_b32 v33, v37 offset:32
	v_and_b32_e32 v35, v35, v39
	v_and_b32_e32 v1, v38, v1
	;; [unrolled: 1-line block ×3, first 2 shown]
	v_mbcnt_lo_u32_b32 v3, v1, 0
	v_mbcnt_hi_u32_b32 v35, v2, v3
	v_cmp_ne_u64_e32 vcc, 0, v[1:2]
	v_cmp_eq_u32_e64 s[0:1], 0, v35
	s_and_b64 s[2:3], vcc, s[0:1]
	; wave barrier
	s_and_saveexec_b64 s[0:1], s[2:3]
	s_cbranch_execz .LBB14_181
; %bb.180:
	v_bcnt_u32_b32 v1, v1, 0
	v_bcnt_u32_b32 v1, v2, v1
	s_waitcnt lgkmcnt(0)
	v_add_u32_e32 v1, v33, v1
	ds_write_b32 v37, v1 offset:32
.LBB14_181:
	s_or_b64 exec, exec, s[0:1]
	v_xor_b32_e32 v36, 0x7fffffff, v36
	v_lshrrev_b32_e32 v1, s68, v36
	v_and_b32_e32 v3, s14, v1
	v_mul_lo_u32 v1, v3, 36
	v_and_b32_e32 v2, 1, v3
	v_add_co_u32_e32 v39, vcc, -1, v2
	v_addc_co_u32_e64 v41, s[0:1], 0, -1, vcc
	v_cmp_ne_u32_e32 vcc, 0, v2
	v_xor_b32_e32 v2, vcc_hi, v41
	v_lshl_add_u32 v42, v23, 2, v1
	v_mov_b32_e32 v1, 0
	v_and_b32_e32 v41, exec_hi, v2
	v_lshlrev_b32_e32 v2, 30, v3
	v_xor_b32_e32 v39, vcc_lo, v39
	v_cmp_gt_i64_e32 vcc, 0, v[1:2]
	v_not_b32_e32 v2, v2
	v_ashrrev_i32_e32 v2, 31, v2
	v_and_b32_e32 v39, exec_lo, v39
	v_xor_b32_e32 v43, vcc_hi, v2
	v_xor_b32_e32 v2, vcc_lo, v2
	v_and_b32_e32 v39, v39, v2
	v_lshlrev_b32_e32 v2, 29, v3
	v_cmp_gt_i64_e32 vcc, 0, v[1:2]
	v_not_b32_e32 v2, v2
	v_ashrrev_i32_e32 v2, 31, v2
	v_and_b32_e32 v41, v41, v43
	v_xor_b32_e32 v43, vcc_hi, v2
	v_xor_b32_e32 v2, vcc_lo, v2
	v_and_b32_e32 v39, v39, v2
	v_lshlrev_b32_e32 v2, 28, v3
	v_cmp_gt_i64_e32 vcc, 0, v[1:2]
	v_not_b32_e32 v2, v2
	v_ashrrev_i32_e32 v2, 31, v2
	v_and_b32_e32 v41, v41, v43
	v_xor_b32_e32 v43, vcc_hi, v2
	v_xor_b32_e32 v2, vcc_lo, v2
	v_and_b32_e32 v39, v39, v2
	v_lshlrev_b32_e32 v2, 27, v3
	v_cmp_gt_i64_e32 vcc, 0, v[1:2]
	v_not_b32_e32 v2, v2
	v_ashrrev_i32_e32 v2, 31, v2
	v_xor_b32_e32 v3, vcc_hi, v2
	v_xor_b32_e32 v2, vcc_lo, v2
	; wave barrier
	ds_read_b32 v38, v42 offset:32
	v_and_b32_e32 v41, v41, v43
	v_and_b32_e32 v2, v39, v2
	;; [unrolled: 1-line block ×3, first 2 shown]
	v_mbcnt_lo_u32_b32 v39, v2, 0
	v_mbcnt_hi_u32_b32 v39, v3, v39
	v_cmp_ne_u64_e32 vcc, 0, v[2:3]
	v_cmp_eq_u32_e64 s[0:1], 0, v39
	s_and_b64 s[2:3], vcc, s[0:1]
	; wave barrier
	s_and_saveexec_b64 s[0:1], s[2:3]
	s_cbranch_execz .LBB14_183
; %bb.182:
	v_bcnt_u32_b32 v2, v2, 0
	v_bcnt_u32_b32 v2, v3, v2
	s_waitcnt lgkmcnt(0)
	v_add_u32_e32 v2, v38, v2
	ds_write_b32 v42, v2 offset:32
.LBB14_183:
	s_or_b64 exec, exec, s[0:1]
	v_xor_b32_e32 v40, 0x7fffffff, v40
	v_lshrrev_b32_e32 v2, s68, v40
	v_and_b32_e32 v3, s14, v2
	v_mul_lo_u32 v2, v3, 36
	v_and_b32_e32 v43, 1, v3
	; wave barrier
	v_lshl_add_u32 v45, v23, 2, v2
	v_add_co_u32_e32 v2, vcc, -1, v43
	v_addc_co_u32_e64 v44, s[0:1], 0, -1, vcc
	v_cmp_ne_u32_e32 vcc, 0, v43
	v_xor_b32_e32 v2, vcc_lo, v2
	v_xor_b32_e32 v43, vcc_hi, v44
	v_and_b32_e32 v44, exec_lo, v2
	v_lshlrev_b32_e32 v2, 30, v3
	v_cmp_gt_i64_e32 vcc, 0, v[1:2]
	v_not_b32_e32 v2, v2
	v_ashrrev_i32_e32 v2, 31, v2
	v_xor_b32_e32 v46, vcc_hi, v2
	v_xor_b32_e32 v2, vcc_lo, v2
	v_and_b32_e32 v44, v44, v2
	v_lshlrev_b32_e32 v2, 29, v3
	v_cmp_gt_i64_e32 vcc, 0, v[1:2]
	v_not_b32_e32 v2, v2
	v_and_b32_e32 v43, exec_hi, v43
	v_ashrrev_i32_e32 v2, 31, v2
	v_and_b32_e32 v43, v43, v46
	v_xor_b32_e32 v46, vcc_hi, v2
	v_xor_b32_e32 v2, vcc_lo, v2
	v_and_b32_e32 v44, v44, v2
	v_lshlrev_b32_e32 v2, 28, v3
	v_cmp_gt_i64_e32 vcc, 0, v[1:2]
	v_not_b32_e32 v2, v2
	v_ashrrev_i32_e32 v2, 31, v2
	v_and_b32_e32 v43, v43, v46
	v_xor_b32_e32 v46, vcc_hi, v2
	v_xor_b32_e32 v2, vcc_lo, v2
	v_and_b32_e32 v44, v44, v2
	v_lshlrev_b32_e32 v2, 27, v3
	v_cmp_gt_i64_e32 vcc, 0, v[1:2]
	v_not_b32_e32 v1, v2
	v_ashrrev_i32_e32 v1, 31, v1
	v_xor_b32_e32 v2, vcc_hi, v1
	v_xor_b32_e32 v1, vcc_lo, v1
	ds_read_b32 v41, v45 offset:32
	v_and_b32_e32 v43, v43, v46
	v_and_b32_e32 v1, v44, v1
	;; [unrolled: 1-line block ×3, first 2 shown]
	v_mbcnt_lo_u32_b32 v3, v1, 0
	v_mbcnt_hi_u32_b32 v43, v2, v3
	v_cmp_ne_u64_e32 vcc, 0, v[1:2]
	v_cmp_eq_u32_e64 s[0:1], 0, v43
	s_and_b64 s[2:3], vcc, s[0:1]
	; wave barrier
	s_and_saveexec_b64 s[0:1], s[2:3]
	s_cbranch_execz .LBB14_185
; %bb.184:
	v_bcnt_u32_b32 v1, v1, 0
	v_bcnt_u32_b32 v1, v2, v1
	s_waitcnt lgkmcnt(0)
	v_add_u32_e32 v1, v41, v1
	ds_write_b32 v45, v1 offset:32
.LBB14_185:
	s_or_b64 exec, exec, s[0:1]
	v_xor_b32_e32 v34, 0x7fffffff, v34
	v_lshrrev_b32_e32 v1, s68, v34
	v_and_b32_e32 v3, s14, v1
	v_mul_lo_u32 v1, v3, 36
	v_and_b32_e32 v2, 1, v3
	v_add_co_u32_e32 v46, vcc, -1, v2
	v_addc_co_u32_e64 v47, s[0:1], 0, -1, vcc
	v_cmp_ne_u32_e32 vcc, 0, v2
	v_xor_b32_e32 v2, vcc_hi, v47
	v_lshl_add_u32 v48, v23, 2, v1
	v_mov_b32_e32 v1, 0
	v_and_b32_e32 v47, exec_hi, v2
	v_lshlrev_b32_e32 v2, 30, v3
	v_xor_b32_e32 v46, vcc_lo, v46
	v_cmp_gt_i64_e32 vcc, 0, v[1:2]
	v_not_b32_e32 v2, v2
	v_ashrrev_i32_e32 v2, 31, v2
	v_and_b32_e32 v46, exec_lo, v46
	v_xor_b32_e32 v49, vcc_hi, v2
	v_xor_b32_e32 v2, vcc_lo, v2
	v_and_b32_e32 v46, v46, v2
	v_lshlrev_b32_e32 v2, 29, v3
	v_cmp_gt_i64_e32 vcc, 0, v[1:2]
	v_not_b32_e32 v2, v2
	v_ashrrev_i32_e32 v2, 31, v2
	v_and_b32_e32 v47, v47, v49
	v_xor_b32_e32 v49, vcc_hi, v2
	v_xor_b32_e32 v2, vcc_lo, v2
	v_and_b32_e32 v46, v46, v2
	v_lshlrev_b32_e32 v2, 28, v3
	v_cmp_gt_i64_e32 vcc, 0, v[1:2]
	v_not_b32_e32 v2, v2
	v_ashrrev_i32_e32 v2, 31, v2
	v_and_b32_e32 v47, v47, v49
	v_xor_b32_e32 v49, vcc_hi, v2
	v_xor_b32_e32 v2, vcc_lo, v2
	v_and_b32_e32 v46, v46, v2
	v_lshlrev_b32_e32 v2, 27, v3
	v_cmp_gt_i64_e32 vcc, 0, v[1:2]
	v_not_b32_e32 v2, v2
	v_ashrrev_i32_e32 v2, 31, v2
	v_xor_b32_e32 v3, vcc_hi, v2
	v_xor_b32_e32 v2, vcc_lo, v2
	; wave barrier
	ds_read_b32 v44, v48 offset:32
	v_and_b32_e32 v47, v47, v49
	v_and_b32_e32 v2, v46, v2
	;; [unrolled: 1-line block ×3, first 2 shown]
	v_mbcnt_lo_u32_b32 v46, v2, 0
	v_mbcnt_hi_u32_b32 v46, v3, v46
	v_cmp_ne_u64_e32 vcc, 0, v[2:3]
	v_cmp_eq_u32_e64 s[0:1], 0, v46
	s_and_b64 s[2:3], vcc, s[0:1]
	; wave barrier
	s_and_saveexec_b64 s[0:1], s[2:3]
	s_cbranch_execz .LBB14_187
; %bb.186:
	v_bcnt_u32_b32 v2, v2, 0
	v_bcnt_u32_b32 v2, v3, v2
	s_waitcnt lgkmcnt(0)
	v_add_u32_e32 v2, v44, v2
	ds_write_b32 v48, v2 offset:32
.LBB14_187:
	s_or_b64 exec, exec, s[0:1]
	v_xor_b32_e32 v29, 0x7fffffff, v29
	v_lshrrev_b32_e32 v2, s68, v29
	v_and_b32_e32 v3, s14, v2
	v_mul_lo_u32 v2, v3, 36
	v_and_b32_e32 v49, 1, v3
	; wave barrier
	v_lshl_add_u32 v51, v23, 2, v2
	v_add_co_u32_e32 v2, vcc, -1, v49
	v_addc_co_u32_e64 v50, s[0:1], 0, -1, vcc
	v_cmp_ne_u32_e32 vcc, 0, v49
	v_xor_b32_e32 v2, vcc_lo, v2
	v_xor_b32_e32 v49, vcc_hi, v50
	v_and_b32_e32 v50, exec_lo, v2
	v_lshlrev_b32_e32 v2, 30, v3
	v_cmp_gt_i64_e32 vcc, 0, v[1:2]
	v_not_b32_e32 v2, v2
	v_ashrrev_i32_e32 v2, 31, v2
	v_xor_b32_e32 v52, vcc_hi, v2
	v_xor_b32_e32 v2, vcc_lo, v2
	v_and_b32_e32 v50, v50, v2
	v_lshlrev_b32_e32 v2, 29, v3
	v_cmp_gt_i64_e32 vcc, 0, v[1:2]
	v_not_b32_e32 v2, v2
	v_and_b32_e32 v49, exec_hi, v49
	v_ashrrev_i32_e32 v2, 31, v2
	v_and_b32_e32 v49, v49, v52
	v_xor_b32_e32 v52, vcc_hi, v2
	v_xor_b32_e32 v2, vcc_lo, v2
	v_and_b32_e32 v50, v50, v2
	v_lshlrev_b32_e32 v2, 28, v3
	v_cmp_gt_i64_e32 vcc, 0, v[1:2]
	v_not_b32_e32 v2, v2
	v_ashrrev_i32_e32 v2, 31, v2
	v_and_b32_e32 v49, v49, v52
	v_xor_b32_e32 v52, vcc_hi, v2
	v_xor_b32_e32 v2, vcc_lo, v2
	v_and_b32_e32 v50, v50, v2
	v_lshlrev_b32_e32 v2, 27, v3
	v_cmp_gt_i64_e32 vcc, 0, v[1:2]
	v_not_b32_e32 v1, v2
	v_ashrrev_i32_e32 v1, 31, v1
	v_xor_b32_e32 v2, vcc_hi, v1
	v_xor_b32_e32 v1, vcc_lo, v1
	ds_read_b32 v47, v51 offset:32
	v_and_b32_e32 v49, v49, v52
	v_and_b32_e32 v1, v50, v1
	;; [unrolled: 1-line block ×3, first 2 shown]
	v_mbcnt_lo_u32_b32 v3, v1, 0
	v_mbcnt_hi_u32_b32 v49, v2, v3
	v_cmp_ne_u64_e32 vcc, 0, v[1:2]
	v_cmp_eq_u32_e64 s[0:1], 0, v49
	s_and_b64 s[2:3], vcc, s[0:1]
	; wave barrier
	s_and_saveexec_b64 s[0:1], s[2:3]
	s_cbranch_execz .LBB14_189
; %bb.188:
	v_bcnt_u32_b32 v1, v1, 0
	v_bcnt_u32_b32 v1, v2, v1
	s_waitcnt lgkmcnt(0)
	v_add_u32_e32 v1, v47, v1
	ds_write_b32 v51, v1 offset:32
.LBB14_189:
	s_or_b64 exec, exec, s[0:1]
	v_xor_b32_e32 v50, 0x7fffffff, v24
	v_lshrrev_b32_e32 v1, s68, v50
	v_and_b32_e32 v3, s14, v1
	v_mul_lo_u32 v1, v3, 36
	v_and_b32_e32 v2, 1, v3
	v_add_co_u32_e32 v52, vcc, -1, v2
	v_addc_co_u32_e64 v53, s[0:1], 0, -1, vcc
	v_cmp_ne_u32_e32 vcc, 0, v2
	v_xor_b32_e32 v2, vcc_hi, v53
	v_lshl_add_u32 v54, v23, 2, v1
	v_mov_b32_e32 v1, 0
	v_and_b32_e32 v53, exec_hi, v2
	v_lshlrev_b32_e32 v2, 30, v3
	v_xor_b32_e32 v52, vcc_lo, v52
	v_cmp_gt_i64_e32 vcc, 0, v[1:2]
	v_not_b32_e32 v2, v2
	v_ashrrev_i32_e32 v2, 31, v2
	v_and_b32_e32 v52, exec_lo, v52
	v_xor_b32_e32 v55, vcc_hi, v2
	v_xor_b32_e32 v2, vcc_lo, v2
	v_and_b32_e32 v52, v52, v2
	v_lshlrev_b32_e32 v2, 29, v3
	v_cmp_gt_i64_e32 vcc, 0, v[1:2]
	v_not_b32_e32 v2, v2
	v_ashrrev_i32_e32 v2, 31, v2
	v_and_b32_e32 v53, v53, v55
	v_xor_b32_e32 v55, vcc_hi, v2
	v_xor_b32_e32 v2, vcc_lo, v2
	v_and_b32_e32 v52, v52, v2
	v_lshlrev_b32_e32 v2, 28, v3
	v_cmp_gt_i64_e32 vcc, 0, v[1:2]
	v_not_b32_e32 v2, v2
	v_ashrrev_i32_e32 v2, 31, v2
	v_and_b32_e32 v53, v53, v55
	v_xor_b32_e32 v55, vcc_hi, v2
	v_xor_b32_e32 v2, vcc_lo, v2
	v_and_b32_e32 v52, v52, v2
	v_lshlrev_b32_e32 v2, 27, v3
	v_cmp_gt_i64_e32 vcc, 0, v[1:2]
	v_not_b32_e32 v2, v2
	v_ashrrev_i32_e32 v2, 31, v2
	v_xor_b32_e32 v3, vcc_hi, v2
	v_xor_b32_e32 v2, vcc_lo, v2
	; wave barrier
	ds_read_b32 v24, v54 offset:32
	v_and_b32_e32 v53, v53, v55
	v_and_b32_e32 v2, v52, v2
	;; [unrolled: 1-line block ×3, first 2 shown]
	v_mbcnt_lo_u32_b32 v52, v2, 0
	v_mbcnt_hi_u32_b32 v52, v3, v52
	v_cmp_ne_u64_e32 vcc, 0, v[2:3]
	v_cmp_eq_u32_e64 s[0:1], 0, v52
	s_and_b64 s[2:3], vcc, s[0:1]
	; wave barrier
	s_and_saveexec_b64 s[0:1], s[2:3]
	s_cbranch_execz .LBB14_191
; %bb.190:
	v_bcnt_u32_b32 v2, v2, 0
	v_bcnt_u32_b32 v2, v3, v2
	s_waitcnt lgkmcnt(0)
	v_add_u32_e32 v2, v24, v2
	ds_write_b32 v54, v2 offset:32
.LBB14_191:
	s_or_b64 exec, exec, s[0:1]
	v_xor_b32_e32 v3, 0x7fffffff, v18
	v_lshrrev_b32_e32 v2, s68, v3
	v_and_b32_e32 v55, s14, v2
	v_mul_lo_u32 v2, v55, 36
	v_and_b32_e32 v56, 1, v55
	; wave barrier
	v_lshl_add_u32 v18, v23, 2, v2
	v_add_co_u32_e32 v2, vcc, -1, v56
	v_addc_co_u32_e64 v23, s[0:1], 0, -1, vcc
	v_cmp_ne_u32_e32 vcc, 0, v56
	v_xor_b32_e32 v2, vcc_lo, v2
	v_and_b32_e32 v56, exec_lo, v2
	v_lshlrev_b32_e32 v2, 30, v55
	v_xor_b32_e32 v23, vcc_hi, v23
	v_cmp_gt_i64_e32 vcc, 0, v[1:2]
	v_not_b32_e32 v2, v2
	v_ashrrev_i32_e32 v2, 31, v2
	v_xor_b32_e32 v57, vcc_hi, v2
	v_xor_b32_e32 v2, vcc_lo, v2
	v_and_b32_e32 v56, v56, v2
	v_lshlrev_b32_e32 v2, 29, v55
	v_cmp_gt_i64_e32 vcc, 0, v[1:2]
	v_not_b32_e32 v2, v2
	v_and_b32_e32 v23, exec_hi, v23
	v_ashrrev_i32_e32 v2, 31, v2
	v_and_b32_e32 v23, v23, v57
	v_xor_b32_e32 v57, vcc_hi, v2
	v_xor_b32_e32 v2, vcc_lo, v2
	v_and_b32_e32 v56, v56, v2
	v_lshlrev_b32_e32 v2, 28, v55
	v_cmp_gt_i64_e32 vcc, 0, v[1:2]
	v_not_b32_e32 v2, v2
	v_ashrrev_i32_e32 v2, 31, v2
	v_and_b32_e32 v23, v23, v57
	v_xor_b32_e32 v57, vcc_hi, v2
	v_xor_b32_e32 v2, vcc_lo, v2
	v_and_b32_e32 v56, v56, v2
	v_lshlrev_b32_e32 v2, 27, v55
	v_cmp_gt_i64_e32 vcc, 0, v[1:2]
	v_not_b32_e32 v1, v2
	v_ashrrev_i32_e32 v1, 31, v1
	v_xor_b32_e32 v2, vcc_hi, v1
	v_xor_b32_e32 v1, vcc_lo, v1
	ds_read_b32 v53, v18 offset:32
	v_and_b32_e32 v23, v23, v57
	v_and_b32_e32 v1, v56, v1
	;; [unrolled: 1-line block ×3, first 2 shown]
	v_mbcnt_lo_u32_b32 v23, v1, 0
	v_mbcnt_hi_u32_b32 v55, v2, v23
	v_cmp_ne_u64_e32 vcc, 0, v[1:2]
	v_cmp_eq_u32_e64 s[0:1], 0, v55
	s_and_b64 s[2:3], vcc, s[0:1]
	; wave barrier
	s_and_saveexec_b64 s[0:1], s[2:3]
	s_cbranch_execz .LBB14_193
; %bb.192:
	v_bcnt_u32_b32 v1, v1, 0
	v_bcnt_u32_b32 v1, v2, v1
	s_waitcnt lgkmcnt(0)
	v_add_u32_e32 v1, v53, v1
	ds_write_b32 v18, v1 offset:32
.LBB14_193:
	s_or_b64 exec, exec, s[0:1]
	; wave barrier
	s_waitcnt lgkmcnt(0)
	s_barrier
	ds_read_b32 v1, v9 offset:32
	v_and_b32_e32 v2, 15, v5
	v_cmp_ne_u32_e32 vcc, 0, v2
	v_min_u32_e32 v7, 0x1c0, v7
	v_or_b32_e32 v7, 63, v7
	s_waitcnt lgkmcnt(0)
	v_mov_b32_dpp v23, v1 row_shr:1 row_mask:0xf bank_mask:0xf
	v_cndmask_b32_e32 v23, 0, v23, vcc
	v_add_u32_e32 v1, v23, v1
	v_cmp_lt_u32_e32 vcc, 1, v2
	s_nop 0
	v_mov_b32_dpp v23, v1 row_shr:2 row_mask:0xf bank_mask:0xf
	v_cndmask_b32_e32 v23, 0, v23, vcc
	v_add_u32_e32 v1, v1, v23
	v_cmp_lt_u32_e32 vcc, 3, v2
	s_nop 0
	;; [unrolled: 5-line block ×3, first 2 shown]
	v_mov_b32_dpp v23, v1 row_shr:8 row_mask:0xf bank_mask:0xf
	v_cndmask_b32_e32 v2, 0, v23, vcc
	v_add_u32_e32 v1, v1, v2
	v_bfe_i32 v23, v5, 4, 1
	v_cmp_lt_u32_e32 vcc, 31, v5
	v_mov_b32_dpp v2, v1 row_bcast:15 row_mask:0xf bank_mask:0xf
	v_and_b32_e32 v2, v23, v2
	v_add_u32_e32 v1, v1, v2
	s_nop 1
	v_mov_b32_dpp v2, v1 row_bcast:31 row_mask:0xf bank_mask:0xf
	v_cndmask_b32_e32 v2, 0, v2, vcc
	v_add_u32_e32 v1, v1, v2
	v_lshrrev_b32_e32 v2, 6, v0
	v_cmp_eq_u32_e32 vcc, v0, v7
	s_and_saveexec_b64 s[0:1], vcc
; %bb.194:
	v_lshlrev_b32_e32 v7, 2, v2
	ds_write_b32 v7, v1
; %bb.195:
	s_or_b64 exec, exec, s[0:1]
	v_cmp_gt_u32_e32 vcc, 8, v0
	s_waitcnt lgkmcnt(0)
	s_barrier
	s_and_saveexec_b64 s[0:1], vcc
	s_cbranch_execz .LBB14_197
; %bb.196:
	ds_read_b32 v7, v9
	v_and_b32_e32 v23, 7, v5
	v_cmp_ne_u32_e32 vcc, 0, v23
	s_waitcnt lgkmcnt(0)
	v_mov_b32_dpp v56, v7 row_shr:1 row_mask:0xf bank_mask:0xf
	v_cndmask_b32_e32 v56, 0, v56, vcc
	v_add_u32_e32 v7, v56, v7
	v_cmp_lt_u32_e32 vcc, 1, v23
	s_nop 0
	v_mov_b32_dpp v56, v7 row_shr:2 row_mask:0xf bank_mask:0xf
	v_cndmask_b32_e32 v56, 0, v56, vcc
	v_add_u32_e32 v7, v7, v56
	v_cmp_lt_u32_e32 vcc, 3, v23
	s_nop 0
	v_mov_b32_dpp v56, v7 row_shr:4 row_mask:0xf bank_mask:0xf
	v_cndmask_b32_e32 v23, 0, v56, vcc
	v_add_u32_e32 v7, v7, v23
	ds_write_b32 v9, v7
.LBB14_197:
	s_or_b64 exec, exec, s[0:1]
	v_cmp_lt_u32_e32 vcc, 63, v0
	v_mov_b32_e32 v7, 0
	s_waitcnt lgkmcnt(0)
	s_barrier
	s_and_saveexec_b64 s[0:1], vcc
; %bb.198:
	v_lshl_add_u32 v2, v2, 2, -4
	ds_read_b32 v7, v2
; %bb.199:
	s_or_b64 exec, exec, s[0:1]
	v_add_u32_e32 v2, -1, v5
	v_and_b32_e32 v23, 64, v5
	v_cmp_lt_i32_e32 vcc, v2, v23
	v_cndmask_b32_e32 v2, v2, v5, vcc
	s_waitcnt lgkmcnt(0)
	v_add_u32_e32 v1, v7, v1
	v_lshlrev_b32_e32 v2, 2, v2
	ds_bpermute_b32 v1, v2, v1
	v_cmp_eq_u32_e32 vcc, 0, v5
	v_cmp_gt_u32_e64 s[0:1], 32, v0
	s_waitcnt lgkmcnt(0)
	v_cndmask_b32_e32 v1, v1, v7, vcc
	ds_write_b32 v9, v1 offset:32
	s_waitcnt lgkmcnt(0)
	s_barrier
	ds_read_b32 v60, v14 offset:32
	ds_read_b32 v59, v16 offset:32
	;; [unrolled: 1-line block ×12, first 2 shown]
	v_mov_b32_e32 v1, 0
	v_cmp_lt_u32_e32 vcc, 31, v0
	v_mov_b32_e32 v2, 0
                                        ; implicit-def: $vgpr14
	s_and_saveexec_b64 s[4:5], s[0:1]
	s_cbranch_execz .LBB14_203
; %bb.200:
	v_mul_u32_u24_e32 v1, 36, v0
	ds_read_b32 v1, v1 offset:32
	v_add_u32_e32 v14, 1, v0
	v_cmp_ne_u32_e64 s[2:3], 32, v14
	v_mov_b32_e32 v2, 0x1800
	s_and_saveexec_b64 s[10:11], s[2:3]
; %bb.201:
	v_mul_u32_u24_e32 v2, 36, v14
	ds_read_b32 v2, v2 offset:32
; %bb.202:
	s_or_b64 exec, exec, s[10:11]
	s_waitcnt lgkmcnt(0)
	v_sub_u32_e32 v14, v2, v1
	v_mov_b32_e32 v2, 0
.LBB14_203:
	s_or_b64 exec, exec, s[4:5]
	v_lshlrev_b32_e32 v8, 2, v8
	s_waitcnt lgkmcnt(11)
	v_lshl_add_u32 v16, v60, 2, v8
	s_waitcnt lgkmcnt(0)
	s_barrier
	ds_write_b32 v16, v6 offset:256
	v_lshlrev_b32_e32 v6, 2, v59
	v_lshlrev_b32_e32 v4, 2, v4
	;; [unrolled: 1-line block ×3, first 2 shown]
	v_add3_u32 v13, v6, v4, v8
	v_lshlrev_b32_e32 v4, 2, v58
	v_lshlrev_b32_e32 v6, 2, v19
	;; [unrolled: 1-line block ×3, first 2 shown]
	v_add3_u32 v17, v4, v6, v8
	v_lshlrev_b32_e32 v4, 2, v57
	v_lshlrev_b32_e32 v6, 2, v25
	;; [unrolled: 1-line block ×3, first 2 shown]
	ds_write_b32 v13, v12 offset:256
	ds_write_b32 v17, v15 offset:256
	v_add3_u32 v15, v4, v6, v8
	v_lshlrev_b32_e32 v4, 2, v56
	v_lshlrev_b32_e32 v6, 2, v30
	v_lshlrev_b32_e32 v8, 2, v28
	v_add3_u32 v18, v4, v6, v8
	v_lshlrev_b32_e32 v4, 2, v37
	v_lshlrev_b32_e32 v6, 2, v35
	v_lshlrev_b32_e32 v8, 2, v33
	;; [unrolled: 4-line block ×3, first 2 shown]
	ds_write_b32 v15, v20 offset:256
	v_add3_u32 v20, v4, v6, v8
	v_lshlrev_b32_e32 v4, 2, v21
	v_lshlrev_b32_e32 v6, 2, v43
	v_lshlrev_b32_e32 v8, 2, v41
	v_add3_u32 v21, v4, v6, v8
	v_lshlrev_b32_e32 v4, 2, v27
	v_lshlrev_b32_e32 v6, 2, v46
	v_lshlrev_b32_e32 v8, 2, v44
	;; [unrolled: 4-line block ×5, first 2 shown]
	v_add3_u32 v25, v4, v5, v6
	v_lshlrev_b32_e32 v12, 3, v0
	ds_write_b32 v18, v26 offset:256
	ds_write_b32 v19, v31 offset:256
	;; [unrolled: 1-line block ×8, first 2 shown]
	s_waitcnt lgkmcnt(0)
	s_barrier
	s_and_saveexec_b64 s[2:3], s[0:1]
	s_cbranch_execz .LBB14_213
; %bb.204:
	v_lshl_add_u32 v3, s6, 5, v0
	v_mov_b32_e32 v4, 0
	v_lshlrev_b64 v[5:6], 2, v[3:4]
	v_mov_b32_e32 v26, s73
	v_add_co_u32_e64 v5, s[0:1], s72, v5
	v_addc_co_u32_e64 v6, s[0:1], v26, v6, s[0:1]
	v_or_b32_e32 v3, 2.0, v14
	s_mov_b64 s[4:5], 0
	s_brev_b32 s15, -4
	s_mov_b32 s16, s6
	v_mov_b32_e32 v27, 0
	global_store_dword v[5:6], v3, off
                                        ; implicit-def: $sgpr0_sgpr1
	s_branch .LBB14_207
.LBB14_205:                             ;   in Loop: Header=BB14_207 Depth=1
	s_or_b64 exec, exec, s[12:13]
.LBB14_206:                             ;   in Loop: Header=BB14_207 Depth=1
	s_or_b64 exec, exec, s[10:11]
	v_and_b32_e32 v7, 0x3fffffff, v3
	v_add_u32_e32 v27, v7, v27
	v_cmp_gt_i32_e64 s[0:1], -2.0, v3
	s_and_b64 s[10:11], exec, s[0:1]
	s_or_b64 s[4:5], s[10:11], s[4:5]
	s_andn2_b64 exec, exec, s[4:5]
	s_cbranch_execz .LBB14_212
.LBB14_207:                             ; =>This Loop Header: Depth=1
                                        ;     Child Loop BB14_210 Depth 2
	s_or_b64 s[0:1], s[0:1], exec
	s_cmp_eq_u32 s16, 0
	s_cbranch_scc1 .LBB14_211
; %bb.208:                              ;   in Loop: Header=BB14_207 Depth=1
	s_add_i32 s16, s16, -1
	v_lshl_or_b32 v3, s16, 5, v0
	v_lshlrev_b64 v[7:8], 2, v[3:4]
	v_add_co_u32_e64 v7, s[0:1], s72, v7
	v_addc_co_u32_e64 v8, s[0:1], v26, v8, s[0:1]
	global_load_dword v3, v[7:8], off glc
	s_waitcnt vmcnt(0)
	v_cmp_gt_u32_e64 s[0:1], 2.0, v3
	s_and_saveexec_b64 s[10:11], s[0:1]
	s_cbranch_execz .LBB14_206
; %bb.209:                              ;   in Loop: Header=BB14_207 Depth=1
	s_mov_b64 s[12:13], 0
.LBB14_210:                             ;   Parent Loop BB14_207 Depth=1
                                        ; =>  This Inner Loop Header: Depth=2
	global_load_dword v3, v[7:8], off glc
	s_waitcnt vmcnt(0)
	v_cmp_lt_u32_e64 s[0:1], s15, v3
	s_or_b64 s[12:13], s[0:1], s[12:13]
	s_andn2_b64 exec, exec, s[12:13]
	s_cbranch_execnz .LBB14_210
	s_branch .LBB14_205
.LBB14_211:                             ;   in Loop: Header=BB14_207 Depth=1
                                        ; implicit-def: $sgpr16
	s_and_b64 s[10:11], exec, s[0:1]
	s_or_b64 s[4:5], s[10:11], s[4:5]
	s_andn2_b64 exec, exec, s[4:5]
	s_cbranch_execnz .LBB14_207
.LBB14_212:
	s_or_b64 exec, exec, s[4:5]
	v_add_u32_e32 v0, v27, v14
	v_or_b32_e32 v0, 0x80000000, v0
	global_store_dword v[5:6], v0, off
	global_load_dwordx2 v[3:4], v12, s[64:65]
	v_sub_co_u32_e64 v0, s[0:1], v27, v1
	v_subb_co_u32_e64 v5, s[0:1], 0, v2, s[0:1]
	s_waitcnt vmcnt(0)
	v_add_co_u32_e64 v3, s[0:1], v0, v3
	v_addc_co_u32_e64 v4, s[0:1], v5, v4, s[0:1]
	ds_write_b64 v12, v[3:4]
.LBB14_213:
	s_or_b64 exec, exec, s[2:3]
	v_sub_u32_e32 v0, v12, v9
	s_waitcnt lgkmcnt(0)
	s_barrier
	ds_read2st64_b32 v[6:7], v0 offset0:1 offset1:9
	v_mov_b32_e32 v36, s59
	v_mov_b32_e32 v50, s59
	s_waitcnt lgkmcnt(0)
	v_lshrrev_b32_e32 v3, s68, v6
	v_and_b32_e32 v3, s14, v3
	v_lshlrev_b32_e32 v3, 3, v3
	ds_read2st64_b32 v[26:27], v0 offset0:17 offset1:25
	ds_read_b64 v[28:29], v3
	v_lshrrev_b32_e32 v4, s68, v7
	v_and_b32_e32 v4, s14, v4
	v_xor_b32_e32 v8, 0x7fffffff, v6
	v_lshlrev_b32_e32 v6, 3, v4
	s_waitcnt lgkmcnt(0)
	v_lshlrev_b64 v[28:29], 2, v[28:29]
	v_lshrrev_b32_e32 v4, s68, v26
	v_lshrrev_b32_e32 v5, s68, v27
	v_and_b32_e32 v4, s14, v4
	v_and_b32_e32 v5, s14, v5
	v_add_co_u32_e64 v28, s[0:1], s58, v28
	v_lshlrev_b32_e32 v4, 3, v4
	v_lshlrev_b32_e32 v5, 3, v5
	ds_read_b64 v[30:31], v6
	ds_read_b64 v[32:33], v4
	;; [unrolled: 1-line block ×3, first 2 shown]
	v_addc_co_u32_e64 v29, s[0:1], v36, v29, s[0:1]
	v_add_co_u32_e64 v28, s[0:1], v28, v9
	v_addc_co_u32_e64 v29, s[0:1], 0, v29, s[0:1]
	global_store_dword v[28:29], v8, off
	v_xor_b32_e32 v28, 0x7fffffff, v7
	s_waitcnt lgkmcnt(2)
	v_lshlrev_b64 v[7:8], 2, v[30:31]
	v_mov_b32_e32 v29, s59
	v_add_co_u32_e64 v7, s[0:1], s58, v7
	v_addc_co_u32_e64 v8, s[0:1], v29, v8, s[0:1]
	v_add_co_u32_e64 v7, s[0:1], v7, v9
	v_addc_co_u32_e64 v8, s[0:1], 0, v8, s[0:1]
	global_store_dword v[7:8], v28, off offset:2048
	s_waitcnt lgkmcnt(1)
	v_lshlrev_b64 v[7:8], 2, v[32:33]
	v_mov_b32_e32 v28, s59
	v_add_co_u32_e64 v29, s[0:1], s58, v7
	v_addc_co_u32_e64 v8, s[0:1], v28, v8, s[0:1]
	v_or_b32_e32 v7, 0x1000, v9
	v_add_co_u32_e64 v28, s[0:1], v29, v7
	v_xor_b32_e32 v26, 0x7fffffff, v26
	v_addc_co_u32_e64 v29, s[0:1], 0, v8, s[0:1]
	global_store_dword v[28:29], v26, off
	v_xor_b32_e32 v28, 0x7fffffff, v27
	s_waitcnt lgkmcnt(0)
	v_lshlrev_b64 v[26:27], 2, v[34:35]
	ds_read2st64_b32 v[30:31], v0 offset0:33 offset1:41
	v_mov_b32_e32 v8, s59
	v_add_co_u32_e64 v26, s[0:1], s58, v26
	v_addc_co_u32_e64 v27, s[0:1], v8, v27, s[0:1]
	v_or_b32_e32 v8, 0x1800, v9
	v_add_co_u32_e64 v26, s[0:1], v26, v8
	v_addc_co_u32_e64 v27, s[0:1], 0, v27, s[0:1]
	global_store_dword v[26:27], v28, off
	s_waitcnt lgkmcnt(0)
	v_lshrrev_b32_e32 v26, s68, v30
	v_and_b32_e32 v26, s14, v26
	v_lshlrev_b32_e32 v26, 3, v26
	ds_read2st64_b32 v[32:33], v0 offset0:49 offset1:57
	ds_read_b64 v[34:35], v26
	v_lshrrev_b32_e32 v27, s68, v31
	v_and_b32_e32 v27, s14, v27
	v_lshlrev_b32_e32 v29, 3, v27
	s_waitcnt lgkmcnt(1)
	v_lshrrev_b32_e32 v27, s68, v32
	s_waitcnt lgkmcnt(0)
	v_lshlrev_b64 v[34:35], 2, v[34:35]
	v_lshrrev_b32_e32 v28, s68, v33
	v_xor_b32_e32 v42, 0x7fffffff, v30
	v_and_b32_e32 v27, s14, v27
	v_and_b32_e32 v28, s14, v28
	v_mov_b32_e32 v30, s59
	v_add_co_u32_e64 v34, s[0:1], s58, v34
	v_lshlrev_b32_e32 v27, 3, v27
	v_lshlrev_b32_e32 v28, 3, v28
	ds_read_b64 v[36:37], v29
	ds_read_b64 v[38:39], v27
	ds_read_b64 v[40:41], v28
	v_addc_co_u32_e64 v35, s[0:1], v30, v35, s[0:1]
	v_or_b32_e32 v30, 0x2000, v9
	v_add_co_u32_e64 v34, s[0:1], v34, v30
	v_addc_co_u32_e64 v35, s[0:1], 0, v35, s[0:1]
	global_store_dword v[34:35], v42, off
	s_waitcnt lgkmcnt(2)
	v_lshlrev_b64 v[34:35], 2, v[36:37]
	v_xor_b32_e32 v42, 0x7fffffff, v31
	v_mov_b32_e32 v31, s59
	v_add_co_u32_e64 v34, s[0:1], s58, v34
	v_addc_co_u32_e64 v35, s[0:1], v31, v35, s[0:1]
	v_or_b32_e32 v31, 0x2800, v9
	v_add_co_u32_e64 v34, s[0:1], v34, v31
	v_addc_co_u32_e64 v35, s[0:1], 0, v35, s[0:1]
	global_store_dword v[34:35], v42, off
	s_waitcnt lgkmcnt(1)
	v_lshlrev_b64 v[34:35], 2, v[38:39]
	v_xor_b32_e32 v36, 0x7fffffff, v32
	v_mov_b32_e32 v32, s59
	v_add_co_u32_e64 v34, s[0:1], s58, v34
	v_addc_co_u32_e64 v35, s[0:1], v32, v35, s[0:1]
	v_or_b32_e32 v32, 0x3000, v9
	v_add_co_u32_e64 v34, s[0:1], v34, v32
	v_addc_co_u32_e64 v35, s[0:1], 0, v35, s[0:1]
	global_store_dword v[34:35], v36, off
	v_xor_b32_e32 v38, 0x7fffffff, v33
	s_waitcnt lgkmcnt(0)
	v_lshlrev_b64 v[33:34], 2, v[40:41]
	v_mov_b32_e32 v35, s59
	v_add_co_u32_e64 v36, s[0:1], s58, v33
	v_addc_co_u32_e64 v37, s[0:1], v35, v34, s[0:1]
	ds_read2st64_b32 v[34:35], v0 offset0:65 offset1:73
	v_or_b32_e32 v33, 0x3800, v9
	v_add_co_u32_e64 v36, s[0:1], v36, v33
	v_addc_co_u32_e64 v37, s[0:1], 0, v37, s[0:1]
	global_store_dword v[36:37], v38, off
	s_waitcnt lgkmcnt(0)
	v_lshrrev_b32_e32 v36, s68, v34
	v_and_b32_e32 v36, s14, v36
	v_xor_b32_e32 v46, 0x7fffffff, v34
	v_lshlrev_b32_e32 v34, 3, v36
	ds_read2st64_b32 v[36:37], v0 offset0:81 offset1:89
	ds_read_b64 v[38:39], v34
	v_lshrrev_b32_e32 v40, s68, v35
	v_and_b32_e32 v40, s14, v40
	v_lshlrev_b32_e32 v47, 3, v40
	s_waitcnt lgkmcnt(1)
	v_lshrrev_b32_e32 v40, s68, v36
	v_and_b32_e32 v40, s14, v40
	s_waitcnt lgkmcnt(0)
	v_lshlrev_b64 v[38:39], 2, v[38:39]
	v_lshlrev_b32_e32 v48, 3, v40
	v_lshrrev_b32_e32 v40, s68, v37
	v_and_b32_e32 v40, s14, v40
	v_add_co_u32_e64 v38, s[0:1], s58, v38
	v_lshlrev_b32_e32 v49, 3, v40
	ds_read_b64 v[40:41], v47
	ds_read_b64 v[42:43], v48
	;; [unrolled: 1-line block ×3, first 2 shown]
	v_addc_co_u32_e64 v39, s[0:1], v50, v39, s[0:1]
	v_or_b32_e32 v50, 0x4000, v9
	v_add_co_u32_e64 v38, s[0:1], v38, v50
	v_addc_co_u32_e64 v39, s[0:1], 0, v39, s[0:1]
	global_store_dword v[38:39], v46, off
	s_waitcnt lgkmcnt(2)
	v_lshlrev_b64 v[38:39], 2, v[40:41]
	v_mov_b32_e32 v40, s59
	v_add_co_u32_e64 v38, s[0:1], s58, v38
	v_addc_co_u32_e64 v39, s[0:1], v40, v39, s[0:1]
	v_or_b32_e32 v40, 0x4800, v9
	v_add_co_u32_e64 v38, s[0:1], v38, v40
	v_xor_b32_e32 v35, 0x7fffffff, v35
	v_addc_co_u32_e64 v39, s[0:1], 0, v39, s[0:1]
	global_store_dword v[38:39], v35, off
	v_xor_b32_e32 v38, 0x7fffffff, v36
	s_waitcnt lgkmcnt(1)
	v_lshlrev_b64 v[35:36], 2, v[42:43]
	v_mov_b32_e32 v39, s59
	v_add_co_u32_e64 v35, s[0:1], s58, v35
	v_addc_co_u32_e64 v36, s[0:1], v39, v36, s[0:1]
	v_or_b32_e32 v39, 0x5000, v9
	v_add_co_u32_e64 v35, s[0:1], v35, v39
	v_addc_co_u32_e64 v36, s[0:1], 0, v36, s[0:1]
	global_store_dword v[35:36], v38, off
	s_waitcnt lgkmcnt(0)
	v_lshlrev_b64 v[35:36], 2, v[44:45]
	v_mov_b32_e32 v38, s59
	v_add_co_u32_e64 v35, s[0:1], s58, v35
	v_addc_co_u32_e64 v36, s[0:1], v38, v36, s[0:1]
	v_or_b32_e32 v38, 0x5800, v9
	v_add_co_u32_e64 v35, s[0:1], v35, v38
	v_addc_co_u32_e64 v36, s[0:1], 0, v36, s[0:1]
	s_add_u32 s0, s60, s8
	v_xor_b32_e32 v37, 0x7fffffff, v37
	s_addc_u32 s1, s61, s9
	global_store_dword v[35:36], v37, off
	v_mov_b32_e32 v35, s1
	v_add_co_u32_e64 v10, s[0:1], s0, v10
	v_addc_co_u32_e64 v35, s[0:1], 0, v35, s[0:1]
	v_add_co_u32_e64 v10, s[0:1], v10, v11
	v_addc_co_u32_e64 v11, s[0:1], 0, v35, s[0:1]
	global_load_dword v35, v[10:11], off
	global_load_dword v36, v[10:11], off offset:256
	global_load_dword v37, v[10:11], off offset:512
	;; [unrolled: 1-line block ×11, first 2 shown]
	s_waitcnt vmcnt(0)
	s_barrier
	ds_write_b32 v16, v35 offset:256
	ds_write_b32 v13, v36 offset:256
	;; [unrolled: 1-line block ×12, first 2 shown]
	s_waitcnt lgkmcnt(0)
	s_barrier
	ds_read_b64 v[10:11], v3
	ds_read2st64_b32 v[15:16], v0 offset0:1 offset1:9
	ds_read_b64 v[17:18], v6
	ds_read_b64 v[3:4], v4
	;; [unrolled: 1-line block ×3, first 2 shown]
	s_waitcnt lgkmcnt(4)
	v_lshlrev_b64 v[10:11], 2, v[10:11]
	v_mov_b32_e32 v13, s63
	v_add_co_u32_e64 v10, s[0:1], s62, v10
	v_addc_co_u32_e64 v11, s[0:1], v13, v11, s[0:1]
	v_add_co_u32_e64 v10, s[0:1], v10, v9
	v_addc_co_u32_e64 v11, s[0:1], 0, v11, s[0:1]
	s_waitcnt lgkmcnt(3)
	global_store_dword v[10:11], v15, off
	s_waitcnt lgkmcnt(2)
	v_lshlrev_b64 v[10:11], 2, v[17:18]
	s_waitcnt lgkmcnt(1)
	v_lshlrev_b64 v[3:4], 2, v[3:4]
	v_add_co_u32_e64 v10, s[0:1], s62, v10
	v_addc_co_u32_e64 v11, s[0:1], v13, v11, s[0:1]
	v_add_co_u32_e64 v9, s[0:1], v10, v9
	v_addc_co_u32_e64 v10, s[0:1], 0, v11, s[0:1]
	global_store_dword v[9:10], v16, off offset:2048
	ds_read2st64_b32 v[9:10], v0 offset0:17 offset1:25
	v_mov_b32_e32 v11, s63
	v_add_co_u32_e64 v3, s[0:1], s62, v3
	v_addc_co_u32_e64 v4, s[0:1], v11, v4, s[0:1]
	v_add_co_u32_e64 v3, s[0:1], v3, v7
	v_addc_co_u32_e64 v4, s[0:1], 0, v4, s[0:1]
	s_waitcnt lgkmcnt(0)
	global_store_dword v[3:4], v9, off
	v_lshlrev_b64 v[3:4], 2, v[5:6]
	v_mov_b32_e32 v5, s63
	v_add_co_u32_e64 v3, s[0:1], s62, v3
	v_addc_co_u32_e64 v4, s[0:1], v5, v4, s[0:1]
	v_add_co_u32_e64 v3, s[0:1], v3, v8
	v_addc_co_u32_e64 v4, s[0:1], 0, v4, s[0:1]
	global_store_dword v[3:4], v10, off
	ds_read_b64 v[3:4], v26
	ds_read2st64_b32 v[5:6], v0 offset0:33 offset1:41
	ds_read_b64 v[7:8], v29
	ds_read_b64 v[9:10], v27
	;; [unrolled: 1-line block ×3, first 2 shown]
	s_waitcnt lgkmcnt(4)
	v_lshlrev_b64 v[3:4], 2, v[3:4]
	s_add_i32 s7, s7, -1
	v_add_co_u32_e64 v3, s[0:1], s62, v3
	v_addc_co_u32_e64 v4, s[0:1], v11, v4, s[0:1]
	v_add_co_u32_e64 v3, s[0:1], v3, v30
	v_addc_co_u32_e64 v4, s[0:1], 0, v4, s[0:1]
	s_waitcnt lgkmcnt(3)
	global_store_dword v[3:4], v5, off
	s_waitcnt lgkmcnt(2)
	v_lshlrev_b64 v[3:4], 2, v[7:8]
	v_mov_b32_e32 v5, s63
	v_add_co_u32_e64 v3, s[0:1], s62, v3
	v_addc_co_u32_e64 v4, s[0:1], v5, v4, s[0:1]
	v_add_co_u32_e64 v3, s[0:1], v3, v31
	v_addc_co_u32_e64 v4, s[0:1], 0, v4, s[0:1]
	global_store_dword v[3:4], v6, off
	s_waitcnt lgkmcnt(1)
	v_lshlrev_b64 v[5:6], 2, v[9:10]
	ds_read2st64_b32 v[3:4], v0 offset0:49 offset1:57
	v_mov_b32_e32 v7, s63
	v_add_co_u32_e64 v5, s[0:1], s62, v5
	v_addc_co_u32_e64 v6, s[0:1], v7, v6, s[0:1]
	v_add_co_u32_e64 v5, s[0:1], v5, v32
	v_addc_co_u32_e64 v6, s[0:1], 0, v6, s[0:1]
	s_waitcnt lgkmcnt(0)
	global_store_dword v[5:6], v3, off
	v_lshlrev_b64 v[5:6], 2, v[15:16]
	v_mov_b32_e32 v3, s63
	v_add_co_u32_e64 v5, s[0:1], s62, v5
	v_addc_co_u32_e64 v3, s[0:1], v3, v6, s[0:1]
	v_add_co_u32_e64 v5, s[0:1], v5, v33
	v_addc_co_u32_e64 v6, s[0:1], 0, v3, s[0:1]
	global_store_dword v[5:6], v4, off
	ds_read_b64 v[3:4], v34
	ds_read2st64_b32 v[5:6], v0 offset0:65 offset1:73
	ds_read_b64 v[7:8], v47
	ds_read_b64 v[9:10], v48
	;; [unrolled: 1-line block ×3, first 2 shown]
	s_waitcnt lgkmcnt(4)
	v_lshlrev_b64 v[3:4], 2, v[3:4]
	s_cmp_eq_u32 s6, s7
	v_add_co_u32_e64 v3, s[0:1], s62, v3
	v_addc_co_u32_e64 v4, s[0:1], v11, v4, s[0:1]
	v_add_co_u32_e64 v3, s[0:1], v3, v50
	v_addc_co_u32_e64 v4, s[0:1], 0, v4, s[0:1]
	s_waitcnt lgkmcnt(3)
	global_store_dword v[3:4], v5, off
	s_waitcnt lgkmcnt(2)
	v_lshlrev_b64 v[3:4], 2, v[7:8]
	v_mov_b32_e32 v5, s63
	v_add_co_u32_e64 v3, s[0:1], s62, v3
	v_addc_co_u32_e64 v4, s[0:1], v5, v4, s[0:1]
	v_add_co_u32_e64 v3, s[0:1], v3, v40
	v_addc_co_u32_e64 v4, s[0:1], 0, v4, s[0:1]
	global_store_dword v[3:4], v6, off
	s_waitcnt lgkmcnt(1)
	v_lshlrev_b64 v[5:6], 2, v[9:10]
	ds_read2st64_b32 v[3:4], v0 offset0:81 offset1:89
	v_mov_b32_e32 v0, s63
	v_add_co_u32_e64 v5, s[0:1], s62, v5
	v_addc_co_u32_e64 v0, s[0:1], v0, v6, s[0:1]
	v_add_co_u32_e64 v5, s[0:1], v5, v39
	v_addc_co_u32_e64 v6, s[0:1], 0, v0, s[0:1]
	s_waitcnt lgkmcnt(0)
	global_store_dword v[5:6], v3, off
	v_lshlrev_b64 v[5:6], 2, v[15:16]
	v_mov_b32_e32 v0, s63
	v_add_co_u32_e64 v3, s[0:1], s62, v5
	v_addc_co_u32_e64 v0, s[0:1], v0, v6, s[0:1]
	v_add_co_u32_e64 v5, s[0:1], v3, v38
	v_addc_co_u32_e64 v6, s[0:1], 0, v0, s[0:1]
	s_cselect_b64 s[0:1], -1, 0
	s_xor_b64 s[2:3], vcc, -1
	s_and_b64 s[0:1], s[2:3], s[0:1]
	global_store_dword v[5:6], v4, off
	s_and_saveexec_b64 s[2:3], s[0:1]
	s_cbranch_execz .LBB14_215
; %bb.214:
	ds_read_b64 v[3:4], v12
	v_add_co_u32_e32 v0, vcc, v1, v14
	v_addc_co_u32_e32 v1, vcc, 0, v2, vcc
	s_waitcnt lgkmcnt(0)
	v_add_co_u32_e32 v0, vcc, v0, v3
	v_addc_co_u32_e32 v1, vcc, v1, v4, vcc
	global_store_dwordx2 v12, v[0:1], s[66:67]
.LBB14_215:
	s_endpgm
	.section	.rodata,"a",@progbits
	.p2align	6, 0x0
	.amdhsa_kernel _ZN7rocprim17ROCPRIM_304000_NS6detail25onesweep_iteration_kernelINS1_34wrapped_radix_sort_onesweep_configINS0_14default_configEiN2at4cuda3cub6detail10OpaqueTypeILi4EEEEELb1EPKiPiPKSA_PSA_mNS0_19identity_decomposerEEEvT1_T2_T3_T4_jPT5_SO_PNS1_23onesweep_lookback_stateET6_jjj
		.amdhsa_group_segment_fixed_size 24832
		.amdhsa_private_segment_fixed_size 0
		.amdhsa_kernarg_size 336
		.amdhsa_user_sgpr_count 6
		.amdhsa_user_sgpr_private_segment_buffer 1
		.amdhsa_user_sgpr_dispatch_ptr 0
		.amdhsa_user_sgpr_queue_ptr 0
		.amdhsa_user_sgpr_kernarg_segment_ptr 1
		.amdhsa_user_sgpr_dispatch_id 0
		.amdhsa_user_sgpr_flat_scratch_init 0
		.amdhsa_user_sgpr_private_segment_size 0
		.amdhsa_uses_dynamic_stack 0
		.amdhsa_system_sgpr_private_segment_wavefront_offset 0
		.amdhsa_system_sgpr_workgroup_id_x 1
		.amdhsa_system_sgpr_workgroup_id_y 0
		.amdhsa_system_sgpr_workgroup_id_z 0
		.amdhsa_system_sgpr_workgroup_info 0
		.amdhsa_system_vgpr_workitem_id 2
		.amdhsa_next_free_vgpr 63
		.amdhsa_next_free_sgpr 98
		.amdhsa_reserve_vcc 1
		.amdhsa_reserve_flat_scratch 0
		.amdhsa_float_round_mode_32 0
		.amdhsa_float_round_mode_16_64 0
		.amdhsa_float_denorm_mode_32 3
		.amdhsa_float_denorm_mode_16_64 3
		.amdhsa_dx10_clamp 1
		.amdhsa_ieee_mode 1
		.amdhsa_fp16_overflow 0
		.amdhsa_exception_fp_ieee_invalid_op 0
		.amdhsa_exception_fp_denorm_src 0
		.amdhsa_exception_fp_ieee_div_zero 0
		.amdhsa_exception_fp_ieee_overflow 0
		.amdhsa_exception_fp_ieee_underflow 0
		.amdhsa_exception_fp_ieee_inexact 0
		.amdhsa_exception_int_div_zero 0
	.end_amdhsa_kernel
	.section	.text._ZN7rocprim17ROCPRIM_304000_NS6detail25onesweep_iteration_kernelINS1_34wrapped_radix_sort_onesweep_configINS0_14default_configEiN2at4cuda3cub6detail10OpaqueTypeILi4EEEEELb1EPKiPiPKSA_PSA_mNS0_19identity_decomposerEEEvT1_T2_T3_T4_jPT5_SO_PNS1_23onesweep_lookback_stateET6_jjj,"axG",@progbits,_ZN7rocprim17ROCPRIM_304000_NS6detail25onesweep_iteration_kernelINS1_34wrapped_radix_sort_onesweep_configINS0_14default_configEiN2at4cuda3cub6detail10OpaqueTypeILi4EEEEELb1EPKiPiPKSA_PSA_mNS0_19identity_decomposerEEEvT1_T2_T3_T4_jPT5_SO_PNS1_23onesweep_lookback_stateET6_jjj,comdat
.Lfunc_end14:
	.size	_ZN7rocprim17ROCPRIM_304000_NS6detail25onesweep_iteration_kernelINS1_34wrapped_radix_sort_onesweep_configINS0_14default_configEiN2at4cuda3cub6detail10OpaqueTypeILi4EEEEELb1EPKiPiPKSA_PSA_mNS0_19identity_decomposerEEEvT1_T2_T3_T4_jPT5_SO_PNS1_23onesweep_lookback_stateET6_jjj, .Lfunc_end14-_ZN7rocprim17ROCPRIM_304000_NS6detail25onesweep_iteration_kernelINS1_34wrapped_radix_sort_onesweep_configINS0_14default_configEiN2at4cuda3cub6detail10OpaqueTypeILi4EEEEELb1EPKiPiPKSA_PSA_mNS0_19identity_decomposerEEEvT1_T2_T3_T4_jPT5_SO_PNS1_23onesweep_lookback_stateET6_jjj
                                        ; -- End function
	.set _ZN7rocprim17ROCPRIM_304000_NS6detail25onesweep_iteration_kernelINS1_34wrapped_radix_sort_onesweep_configINS0_14default_configEiN2at4cuda3cub6detail10OpaqueTypeILi4EEEEELb1EPKiPiPKSA_PSA_mNS0_19identity_decomposerEEEvT1_T2_T3_T4_jPT5_SO_PNS1_23onesweep_lookback_stateET6_jjj.num_vgpr, 63
	.set _ZN7rocprim17ROCPRIM_304000_NS6detail25onesweep_iteration_kernelINS1_34wrapped_radix_sort_onesweep_configINS0_14default_configEiN2at4cuda3cub6detail10OpaqueTypeILi4EEEEELb1EPKiPiPKSA_PSA_mNS0_19identity_decomposerEEEvT1_T2_T3_T4_jPT5_SO_PNS1_23onesweep_lookback_stateET6_jjj.num_agpr, 0
	.set _ZN7rocprim17ROCPRIM_304000_NS6detail25onesweep_iteration_kernelINS1_34wrapped_radix_sort_onesweep_configINS0_14default_configEiN2at4cuda3cub6detail10OpaqueTypeILi4EEEEELb1EPKiPiPKSA_PSA_mNS0_19identity_decomposerEEEvT1_T2_T3_T4_jPT5_SO_PNS1_23onesweep_lookback_stateET6_jjj.numbered_sgpr, 78
	.set _ZN7rocprim17ROCPRIM_304000_NS6detail25onesweep_iteration_kernelINS1_34wrapped_radix_sort_onesweep_configINS0_14default_configEiN2at4cuda3cub6detail10OpaqueTypeILi4EEEEELb1EPKiPiPKSA_PSA_mNS0_19identity_decomposerEEEvT1_T2_T3_T4_jPT5_SO_PNS1_23onesweep_lookback_stateET6_jjj.num_named_barrier, 0
	.set _ZN7rocprim17ROCPRIM_304000_NS6detail25onesweep_iteration_kernelINS1_34wrapped_radix_sort_onesweep_configINS0_14default_configEiN2at4cuda3cub6detail10OpaqueTypeILi4EEEEELb1EPKiPiPKSA_PSA_mNS0_19identity_decomposerEEEvT1_T2_T3_T4_jPT5_SO_PNS1_23onesweep_lookback_stateET6_jjj.private_seg_size, 0
	.set _ZN7rocprim17ROCPRIM_304000_NS6detail25onesweep_iteration_kernelINS1_34wrapped_radix_sort_onesweep_configINS0_14default_configEiN2at4cuda3cub6detail10OpaqueTypeILi4EEEEELb1EPKiPiPKSA_PSA_mNS0_19identity_decomposerEEEvT1_T2_T3_T4_jPT5_SO_PNS1_23onesweep_lookback_stateET6_jjj.uses_vcc, 1
	.set _ZN7rocprim17ROCPRIM_304000_NS6detail25onesweep_iteration_kernelINS1_34wrapped_radix_sort_onesweep_configINS0_14default_configEiN2at4cuda3cub6detail10OpaqueTypeILi4EEEEELb1EPKiPiPKSA_PSA_mNS0_19identity_decomposerEEEvT1_T2_T3_T4_jPT5_SO_PNS1_23onesweep_lookback_stateET6_jjj.uses_flat_scratch, 0
	.set _ZN7rocprim17ROCPRIM_304000_NS6detail25onesweep_iteration_kernelINS1_34wrapped_radix_sort_onesweep_configINS0_14default_configEiN2at4cuda3cub6detail10OpaqueTypeILi4EEEEELb1EPKiPiPKSA_PSA_mNS0_19identity_decomposerEEEvT1_T2_T3_T4_jPT5_SO_PNS1_23onesweep_lookback_stateET6_jjj.has_dyn_sized_stack, 0
	.set _ZN7rocprim17ROCPRIM_304000_NS6detail25onesweep_iteration_kernelINS1_34wrapped_radix_sort_onesweep_configINS0_14default_configEiN2at4cuda3cub6detail10OpaqueTypeILi4EEEEELb1EPKiPiPKSA_PSA_mNS0_19identity_decomposerEEEvT1_T2_T3_T4_jPT5_SO_PNS1_23onesweep_lookback_stateET6_jjj.has_recursion, 0
	.set _ZN7rocprim17ROCPRIM_304000_NS6detail25onesweep_iteration_kernelINS1_34wrapped_radix_sort_onesweep_configINS0_14default_configEiN2at4cuda3cub6detail10OpaqueTypeILi4EEEEELb1EPKiPiPKSA_PSA_mNS0_19identity_decomposerEEEvT1_T2_T3_T4_jPT5_SO_PNS1_23onesweep_lookback_stateET6_jjj.has_indirect_call, 0
	.section	.AMDGPU.csdata,"",@progbits
; Kernel info:
; codeLenInByte = 16784
; TotalNumSgprs: 82
; NumVgprs: 63
; ScratchSize: 0
; MemoryBound: 0
; FloatMode: 240
; IeeeMode: 1
; LDSByteSize: 24832 bytes/workgroup (compile time only)
; SGPRBlocks: 12
; VGPRBlocks: 15
; NumSGPRsForWavesPerEU: 102
; NumVGPRsForWavesPerEU: 63
; Occupancy: 4
; WaveLimiterHint : 1
; COMPUTE_PGM_RSRC2:SCRATCH_EN: 0
; COMPUTE_PGM_RSRC2:USER_SGPR: 6
; COMPUTE_PGM_RSRC2:TRAP_HANDLER: 0
; COMPUTE_PGM_RSRC2:TGID_X_EN: 1
; COMPUTE_PGM_RSRC2:TGID_Y_EN: 0
; COMPUTE_PGM_RSRC2:TGID_Z_EN: 0
; COMPUTE_PGM_RSRC2:TIDIG_COMP_CNT: 2
	.section	.text._ZN7rocprim17ROCPRIM_304000_NS6detail25onesweep_iteration_kernelINS1_34wrapped_radix_sort_onesweep_configINS0_14default_configEiN2at4cuda3cub6detail10OpaqueTypeILi4EEEEELb1EPiSC_PSA_SD_mNS0_19identity_decomposerEEEvT1_T2_T3_T4_jPT5_SK_PNS1_23onesweep_lookback_stateET6_jjj,"axG",@progbits,_ZN7rocprim17ROCPRIM_304000_NS6detail25onesweep_iteration_kernelINS1_34wrapped_radix_sort_onesweep_configINS0_14default_configEiN2at4cuda3cub6detail10OpaqueTypeILi4EEEEELb1EPiSC_PSA_SD_mNS0_19identity_decomposerEEEvT1_T2_T3_T4_jPT5_SK_PNS1_23onesweep_lookback_stateET6_jjj,comdat
	.protected	_ZN7rocprim17ROCPRIM_304000_NS6detail25onesweep_iteration_kernelINS1_34wrapped_radix_sort_onesweep_configINS0_14default_configEiN2at4cuda3cub6detail10OpaqueTypeILi4EEEEELb1EPiSC_PSA_SD_mNS0_19identity_decomposerEEEvT1_T2_T3_T4_jPT5_SK_PNS1_23onesweep_lookback_stateET6_jjj ; -- Begin function _ZN7rocprim17ROCPRIM_304000_NS6detail25onesweep_iteration_kernelINS1_34wrapped_radix_sort_onesweep_configINS0_14default_configEiN2at4cuda3cub6detail10OpaqueTypeILi4EEEEELb1EPiSC_PSA_SD_mNS0_19identity_decomposerEEEvT1_T2_T3_T4_jPT5_SK_PNS1_23onesweep_lookback_stateET6_jjj
	.globl	_ZN7rocprim17ROCPRIM_304000_NS6detail25onesweep_iteration_kernelINS1_34wrapped_radix_sort_onesweep_configINS0_14default_configEiN2at4cuda3cub6detail10OpaqueTypeILi4EEEEELb1EPiSC_PSA_SD_mNS0_19identity_decomposerEEEvT1_T2_T3_T4_jPT5_SK_PNS1_23onesweep_lookback_stateET6_jjj
	.p2align	8
	.type	_ZN7rocprim17ROCPRIM_304000_NS6detail25onesweep_iteration_kernelINS1_34wrapped_radix_sort_onesweep_configINS0_14default_configEiN2at4cuda3cub6detail10OpaqueTypeILi4EEEEELb1EPiSC_PSA_SD_mNS0_19identity_decomposerEEEvT1_T2_T3_T4_jPT5_SK_PNS1_23onesweep_lookback_stateET6_jjj,@function
_ZN7rocprim17ROCPRIM_304000_NS6detail25onesweep_iteration_kernelINS1_34wrapped_radix_sort_onesweep_configINS0_14default_configEiN2at4cuda3cub6detail10OpaqueTypeILi4EEEEELb1EPiSC_PSA_SD_mNS0_19identity_decomposerEEEvT1_T2_T3_T4_jPT5_SK_PNS1_23onesweep_lookback_stateET6_jjj: ; @_ZN7rocprim17ROCPRIM_304000_NS6detail25onesweep_iteration_kernelINS1_34wrapped_radix_sort_onesweep_configINS0_14default_configEiN2at4cuda3cub6detail10OpaqueTypeILi4EEEEELb1EPiSC_PSA_SD_mNS0_19identity_decomposerEEEvT1_T2_T3_T4_jPT5_SK_PNS1_23onesweep_lookback_stateET6_jjj
; %bb.0:
	s_load_dwordx4 s[68:71], s[4:5], 0x44
	s_load_dwordx8 s[56:63], s[4:5], 0x0
	s_load_dwordx4 s[64:67], s[4:5], 0x28
	s_load_dwordx2 s[72:73], s[4:5], 0x38
	s_mov_b64 s[0:1], -1
	s_waitcnt lgkmcnt(0)
	s_cmp_ge_u32 s6, s70
	s_mul_i32 s74, s6, 0x1800
	v_mbcnt_lo_u32_b32 v11, -1, 0
	s_cbranch_scc0 .LBB15_168
; %bb.1:
	s_load_dword s0, s[4:5], 0x20
	s_mul_i32 s1, s70, 0xffffe800
	s_mov_b32 s75, 0
	s_lshl_b64 s[70:71], s[74:75], 2
	v_mbcnt_hi_u32_b32 v6, -1, v11
	s_waitcnt lgkmcnt(0)
	s_add_i32 s75, s1, s0
	s_add_u32 s0, s56, s70
	s_addc_u32 s1, s57, s71
	v_and_b32_e32 v23, 0x1c0, v0
	v_lshlrev_b32_e32 v13, 2, v6
	v_mul_u32_u24_e32 v5, 12, v23
	v_mov_b32_e32 v3, s1
	v_add_co_u32_e32 v4, vcc, s0, v13
	v_addc_co_u32_e32 v8, vcc, 0, v3, vcc
	v_lshlrev_b32_e32 v14, 2, v5
	v_add_co_u32_e32 v3, vcc, v4, v14
	v_addc_co_u32_e32 v4, vcc, 0, v8, vcc
	v_or_b32_e32 v5, v6, v5
	v_mov_b32_e32 v7, -1
	v_cmp_gt_u32_e32 vcc, s75, v5
	v_mov_b32_e32 v8, -1
	s_and_saveexec_b64 s[0:1], vcc
	s_cbranch_execz .LBB15_3
; %bb.2:
	global_load_dword v8, v[3:4], off
	s_waitcnt vmcnt(0)
	v_xor_b32_e32 v8, 0x7fffffff, v8
.LBB15_3:
	s_or_b64 exec, exec, s[0:1]
	v_add_u32_e32 v9, 64, v5
	v_cmp_gt_u32_e64 s[0:1], s75, v9
	s_and_saveexec_b64 s[2:3], s[0:1]
	s_cbranch_execz .LBB15_5
; %bb.4:
	global_load_dword v7, v[3:4], off offset:256
	s_waitcnt vmcnt(0)
	v_xor_b32_e32 v7, 0x7fffffff, v7
.LBB15_5:
	s_or_b64 exec, exec, s[2:3]
	v_add_u32_e32 v9, 0x80, v5
	v_cmp_gt_u32_e64 s[2:3], s75, v9
	v_mov_b32_e32 v9, -1
	v_mov_b32_e32 v10, -1
	s_and_saveexec_b64 s[8:9], s[2:3]
	s_cbranch_execz .LBB15_7
; %bb.6:
	global_load_dword v10, v[3:4], off offset:512
	s_waitcnt vmcnt(0)
	v_xor_b32_e32 v10, 0x7fffffff, v10
.LBB15_7:
	s_or_b64 exec, exec, s[8:9]
	v_add_u32_e32 v12, 0xc0, v5
	v_cmp_gt_u32_e64 s[52:53], s75, v12
	s_and_saveexec_b64 s[8:9], s[52:53]
	s_cbranch_execz .LBB15_9
; %bb.8:
	global_load_dword v9, v[3:4], off offset:768
	s_waitcnt vmcnt(0)
	v_xor_b32_e32 v9, 0x7fffffff, v9
.LBB15_9:
	s_or_b64 exec, exec, s[8:9]
	v_add_u32_e32 v12, 0x100, v5
	v_cmp_gt_u32_e64 s[8:9], s75, v12
	v_mov_b32_e32 v15, -1
	v_mov_b32_e32 v16, -1
	s_and_saveexec_b64 s[10:11], s[8:9]
	s_cbranch_execz .LBB15_11
; %bb.10:
	global_load_dword v12, v[3:4], off offset:1024
	s_waitcnt vmcnt(0)
	v_xor_b32_e32 v16, 0x7fffffff, v12
.LBB15_11:
	;; [unrolled: 22-line block ×5, first 2 shown]
	s_or_b64 exec, exec, s[22:23]
	v_add_u32_e32 v5, 0x2c0, v5
	v_cmp_gt_u32_e64 s[22:23], s75, v5
	s_and_saveexec_b64 s[24:25], s[22:23]
	s_cbranch_execz .LBB15_25
; %bb.24:
	global_load_dword v3, v[3:4], off offset:2816
	s_waitcnt vmcnt(0)
	v_xor_b32_e32 v21, 0x7fffffff, v3
.LBB15_25:
	s_or_b64 exec, exec, s[24:25]
	s_load_dword s24, s[4:5], 0x5c
	s_load_dword s7, s[4:5], 0x50
	s_add_u32 s25, s4, 0x50
	s_addc_u32 s26, s5, 0
	v_mov_b32_e32 v3, 0
	s_waitcnt lgkmcnt(0)
	s_lshr_b32 s27, s24, 16
	s_cmp_lt_u32 s6, s7
	s_cselect_b32 s24, 12, 18
	s_add_u32 s24, s25, s24
	s_addc_u32 s25, s26, 0
	global_load_ushort v24, v3, s[24:25]
	s_lshl_b32 s24, -1, s69
	v_lshrrev_b32_e32 v4, s68, v8
	s_not_b32 s33, s24
	v_and_b32_e32 v5, s33, v4
	v_and_b32_e32 v26, 1, v5
	v_add_co_u32_e64 v28, s[24:25], -1, v26
	v_lshlrev_b32_e32 v4, 30, v5
	v_addc_co_u32_e64 v29, s[24:25], 0, -1, s[24:25]
	v_mad_u32_u24 v25, v2, s27, v1
	v_cmp_ne_u32_e64 s[24:25], 0, v26
	v_cmp_gt_i64_e64 s[26:27], 0, v[3:4]
	v_not_b32_e32 v26, v4
	v_lshlrev_b32_e32 v4, 29, v5
	v_xor_b32_e32 v29, s25, v29
	v_xor_b32_e32 v28, s24, v28
	v_ashrrev_i32_e32 v26, 31, v26
	v_cmp_gt_i64_e64 s[24:25], 0, v[3:4]
	v_not_b32_e32 v30, v4
	v_lshlrev_b32_e32 v4, 28, v5
	v_and_b32_e32 v29, exec_hi, v29
	v_and_b32_e32 v28, exec_lo, v28
	v_xor_b32_e32 v31, s27, v26
	v_xor_b32_e32 v26, s26, v26
	v_ashrrev_i32_e32 v30, 31, v30
	v_cmp_gt_i64_e64 s[26:27], 0, v[3:4]
	v_not_b32_e32 v32, v4
	v_lshlrev_b32_e32 v4, 27, v5
	v_mul_lo_u32 v27, v5, 36
	v_and_b32_e32 v5, v29, v31
	v_and_b32_e32 v26, v28, v26
	v_xor_b32_e32 v28, s25, v30
	v_xor_b32_e32 v29, s24, v30
	v_ashrrev_i32_e32 v30, 31, v32
	v_cmp_gt_i64_e64 s[24:25], 0, v[3:4]
	v_not_b32_e32 v4, v4
	v_and_b32_e32 v5, v5, v28
	v_and_b32_e32 v26, v26, v29
	v_xor_b32_e32 v28, s27, v30
	v_xor_b32_e32 v29, s26, v30
	v_ashrrev_i32_e32 v4, 31, v4
	v_and_b32_e32 v5, v5, v28
	v_and_b32_e32 v26, v26, v29
	v_xor_b32_e32 v28, s25, v4
	v_xor_b32_e32 v4, s24, v4
	v_and_b32_e32 v4, v26, v4
	v_and_b32_e32 v5, v5, v28
	v_mbcnt_lo_u32_b32 v28, v4, 0
	v_lshlrev_b32_e32 v12, 2, v0
	ds_write_b32 v12, v3 offset:32
	s_waitcnt vmcnt(0) lgkmcnt(0)
	s_barrier
	; wave barrier
	v_mad_u64_u32 v[25:26], s[24:25], v25, v24, v[0:1]
	v_cmp_ne_u64_e64 s[24:25], 0, v[4:5]
	v_mbcnt_hi_u32_b32 v24, v5, v28
	v_cmp_eq_u32_e64 s[26:27], 0, v24
	v_lshrrev_b32_e32 v33, 6, v25
	v_lshl_add_u32 v26, v33, 2, v27
	s_and_b64 s[26:27], s[24:25], s[26:27]
	s_and_saveexec_b64 s[24:25], s[26:27]
; %bb.26:
	v_bcnt_u32_b32 v4, v4, 0
	v_bcnt_u32_b32 v4, v5, v4
	ds_write_b32 v26, v4 offset:32
; %bb.27:
	s_or_b64 exec, exec, s[24:25]
	v_lshrrev_b32_e32 v4, s68, v7
	v_and_b32_e32 v5, s33, v4
	v_mul_lo_u32 v4, v5, 36
	v_and_b32_e32 v27, 1, v5
	; wave barrier
	v_lshl_add_u32 v28, v33, 2, v4
	v_add_co_u32_e64 v4, s[24:25], -1, v27
	v_addc_co_u32_e64 v29, s[24:25], 0, -1, s[24:25]
	v_cmp_ne_u32_e64 s[24:25], 0, v27
	v_xor_b32_e32 v4, s24, v4
	v_xor_b32_e32 v27, s25, v29
	v_and_b32_e32 v29, exec_lo, v4
	v_lshlrev_b32_e32 v4, 30, v5
	v_cmp_gt_i64_e64 s[24:25], 0, v[3:4]
	v_not_b32_e32 v4, v4
	v_ashrrev_i32_e32 v4, 31, v4
	v_xor_b32_e32 v30, s25, v4
	v_xor_b32_e32 v4, s24, v4
	v_and_b32_e32 v29, v29, v4
	v_lshlrev_b32_e32 v4, 29, v5
	v_cmp_gt_i64_e64 s[24:25], 0, v[3:4]
	v_not_b32_e32 v4, v4
	v_and_b32_e32 v27, exec_hi, v27
	v_ashrrev_i32_e32 v4, 31, v4
	v_and_b32_e32 v27, v27, v30
	v_xor_b32_e32 v30, s25, v4
	v_xor_b32_e32 v4, s24, v4
	v_and_b32_e32 v29, v29, v4
	v_lshlrev_b32_e32 v4, 28, v5
	v_cmp_gt_i64_e64 s[24:25], 0, v[3:4]
	v_not_b32_e32 v4, v4
	v_ashrrev_i32_e32 v4, 31, v4
	v_and_b32_e32 v27, v27, v30
	v_xor_b32_e32 v30, s25, v4
	v_xor_b32_e32 v4, s24, v4
	v_and_b32_e32 v29, v29, v4
	v_lshlrev_b32_e32 v4, 27, v5
	v_cmp_gt_i64_e64 s[24:25], 0, v[3:4]
	v_not_b32_e32 v3, v4
	v_ashrrev_i32_e32 v3, 31, v3
	v_xor_b32_e32 v4, s25, v3
	v_xor_b32_e32 v3, s24, v3
	ds_read_b32 v25, v28 offset:32
	v_and_b32_e32 v27, v27, v30
	v_and_b32_e32 v3, v29, v3
	v_and_b32_e32 v4, v27, v4
	v_mbcnt_lo_u32_b32 v5, v3, 0
	v_mbcnt_hi_u32_b32 v27, v4, v5
	v_cmp_ne_u64_e64 s[24:25], 0, v[3:4]
	v_cmp_eq_u32_e64 s[26:27], 0, v27
	s_and_b64 s[26:27], s[24:25], s[26:27]
	; wave barrier
	s_and_saveexec_b64 s[24:25], s[26:27]
	s_cbranch_execz .LBB15_29
; %bb.28:
	v_bcnt_u32_b32 v3, v3, 0
	v_bcnt_u32_b32 v3, v4, v3
	s_waitcnt lgkmcnt(0)
	v_add_u32_e32 v3, v25, v3
	ds_write_b32 v28, v3 offset:32
.LBB15_29:
	s_or_b64 exec, exec, s[24:25]
	v_lshrrev_b32_e32 v3, s68, v10
	v_and_b32_e32 v5, s33, v3
	v_and_b32_e32 v4, 1, v5
	v_mul_lo_u32 v3, v5, 36
	v_add_co_u32_e64 v30, s[24:25], -1, v4
	v_addc_co_u32_e64 v32, s[24:25], 0, -1, s[24:25]
	v_cmp_ne_u32_e64 s[24:25], 0, v4
	v_xor_b32_e32 v4, s25, v32
	v_lshl_add_u32 v31, v33, 2, v3
	v_mov_b32_e32 v3, 0
	v_and_b32_e32 v32, exec_hi, v4
	v_lshlrev_b32_e32 v4, 30, v5
	v_xor_b32_e32 v30, s24, v30
	v_cmp_gt_i64_e64 s[24:25], 0, v[3:4]
	v_not_b32_e32 v4, v4
	v_ashrrev_i32_e32 v4, 31, v4
	v_and_b32_e32 v30, exec_lo, v30
	v_xor_b32_e32 v34, s25, v4
	v_xor_b32_e32 v4, s24, v4
	v_and_b32_e32 v30, v30, v4
	v_lshlrev_b32_e32 v4, 29, v5
	v_cmp_gt_i64_e64 s[24:25], 0, v[3:4]
	v_not_b32_e32 v4, v4
	v_ashrrev_i32_e32 v4, 31, v4
	v_and_b32_e32 v32, v32, v34
	v_xor_b32_e32 v34, s25, v4
	v_xor_b32_e32 v4, s24, v4
	v_and_b32_e32 v30, v30, v4
	v_lshlrev_b32_e32 v4, 28, v5
	v_cmp_gt_i64_e64 s[24:25], 0, v[3:4]
	v_not_b32_e32 v4, v4
	v_ashrrev_i32_e32 v4, 31, v4
	v_and_b32_e32 v32, v32, v34
	v_xor_b32_e32 v34, s25, v4
	v_xor_b32_e32 v4, s24, v4
	v_and_b32_e32 v30, v30, v4
	v_lshlrev_b32_e32 v4, 27, v5
	v_cmp_gt_i64_e64 s[24:25], 0, v[3:4]
	v_not_b32_e32 v4, v4
	v_ashrrev_i32_e32 v4, 31, v4
	v_xor_b32_e32 v5, s25, v4
	v_xor_b32_e32 v4, s24, v4
	; wave barrier
	ds_read_b32 v29, v31 offset:32
	v_and_b32_e32 v32, v32, v34
	v_and_b32_e32 v4, v30, v4
	;; [unrolled: 1-line block ×3, first 2 shown]
	v_mbcnt_lo_u32_b32 v30, v4, 0
	v_mbcnt_hi_u32_b32 v30, v5, v30
	v_cmp_ne_u64_e64 s[24:25], 0, v[4:5]
	v_cmp_eq_u32_e64 s[26:27], 0, v30
	s_and_b64 s[26:27], s[24:25], s[26:27]
	; wave barrier
	s_and_saveexec_b64 s[24:25], s[26:27]
	s_cbranch_execz .LBB15_31
; %bb.30:
	v_bcnt_u32_b32 v4, v4, 0
	v_bcnt_u32_b32 v4, v5, v4
	s_waitcnt lgkmcnt(0)
	v_add_u32_e32 v4, v29, v4
	ds_write_b32 v31, v4 offset:32
.LBB15_31:
	s_or_b64 exec, exec, s[24:25]
	v_lshrrev_b32_e32 v4, s68, v9
	v_and_b32_e32 v5, s33, v4
	v_mul_lo_u32 v4, v5, 36
	v_and_b32_e32 v34, 1, v5
	; wave barrier
	v_lshl_add_u32 v35, v33, 2, v4
	v_add_co_u32_e64 v4, s[24:25], -1, v34
	v_addc_co_u32_e64 v36, s[24:25], 0, -1, s[24:25]
	v_cmp_ne_u32_e64 s[24:25], 0, v34
	v_xor_b32_e32 v4, s24, v4
	v_xor_b32_e32 v34, s25, v36
	v_and_b32_e32 v36, exec_lo, v4
	v_lshlrev_b32_e32 v4, 30, v5
	v_cmp_gt_i64_e64 s[24:25], 0, v[3:4]
	v_not_b32_e32 v4, v4
	v_ashrrev_i32_e32 v4, 31, v4
	v_xor_b32_e32 v37, s25, v4
	v_xor_b32_e32 v4, s24, v4
	v_and_b32_e32 v36, v36, v4
	v_lshlrev_b32_e32 v4, 29, v5
	v_cmp_gt_i64_e64 s[24:25], 0, v[3:4]
	v_not_b32_e32 v4, v4
	v_and_b32_e32 v34, exec_hi, v34
	v_ashrrev_i32_e32 v4, 31, v4
	v_and_b32_e32 v34, v34, v37
	v_xor_b32_e32 v37, s25, v4
	v_xor_b32_e32 v4, s24, v4
	v_and_b32_e32 v36, v36, v4
	v_lshlrev_b32_e32 v4, 28, v5
	v_cmp_gt_i64_e64 s[24:25], 0, v[3:4]
	v_not_b32_e32 v4, v4
	v_ashrrev_i32_e32 v4, 31, v4
	v_and_b32_e32 v34, v34, v37
	v_xor_b32_e32 v37, s25, v4
	v_xor_b32_e32 v4, s24, v4
	v_and_b32_e32 v36, v36, v4
	v_lshlrev_b32_e32 v4, 27, v5
	v_cmp_gt_i64_e64 s[24:25], 0, v[3:4]
	v_not_b32_e32 v3, v4
	v_ashrrev_i32_e32 v3, 31, v3
	v_xor_b32_e32 v4, s25, v3
	v_xor_b32_e32 v3, s24, v3
	ds_read_b32 v32, v35 offset:32
	v_and_b32_e32 v34, v34, v37
	v_and_b32_e32 v3, v36, v3
	;; [unrolled: 1-line block ×3, first 2 shown]
	v_mbcnt_lo_u32_b32 v5, v3, 0
	v_mbcnt_hi_u32_b32 v34, v4, v5
	v_cmp_ne_u64_e64 s[24:25], 0, v[3:4]
	v_cmp_eq_u32_e64 s[26:27], 0, v34
	s_and_b64 s[26:27], s[24:25], s[26:27]
	; wave barrier
	s_and_saveexec_b64 s[24:25], s[26:27]
	s_cbranch_execz .LBB15_33
; %bb.32:
	v_bcnt_u32_b32 v3, v3, 0
	v_bcnt_u32_b32 v3, v4, v3
	s_waitcnt lgkmcnt(0)
	v_add_u32_e32 v3, v32, v3
	ds_write_b32 v35, v3 offset:32
.LBB15_33:
	s_or_b64 exec, exec, s[24:25]
	v_lshrrev_b32_e32 v3, s68, v16
	v_and_b32_e32 v5, s33, v3
	v_and_b32_e32 v4, 1, v5
	v_mul_lo_u32 v3, v5, 36
	v_add_co_u32_e64 v37, s[24:25], -1, v4
	v_addc_co_u32_e64 v39, s[24:25], 0, -1, s[24:25]
	v_cmp_ne_u32_e64 s[24:25], 0, v4
	v_xor_b32_e32 v4, s25, v39
	v_lshl_add_u32 v38, v33, 2, v3
	v_mov_b32_e32 v3, 0
	v_and_b32_e32 v39, exec_hi, v4
	v_lshlrev_b32_e32 v4, 30, v5
	v_xor_b32_e32 v37, s24, v37
	v_cmp_gt_i64_e64 s[24:25], 0, v[3:4]
	v_not_b32_e32 v4, v4
	v_ashrrev_i32_e32 v4, 31, v4
	v_and_b32_e32 v37, exec_lo, v37
	v_xor_b32_e32 v40, s25, v4
	v_xor_b32_e32 v4, s24, v4
	v_and_b32_e32 v37, v37, v4
	v_lshlrev_b32_e32 v4, 29, v5
	v_cmp_gt_i64_e64 s[24:25], 0, v[3:4]
	v_not_b32_e32 v4, v4
	v_ashrrev_i32_e32 v4, 31, v4
	v_and_b32_e32 v39, v39, v40
	v_xor_b32_e32 v40, s25, v4
	v_xor_b32_e32 v4, s24, v4
	v_and_b32_e32 v37, v37, v4
	v_lshlrev_b32_e32 v4, 28, v5
	v_cmp_gt_i64_e64 s[24:25], 0, v[3:4]
	v_not_b32_e32 v4, v4
	v_ashrrev_i32_e32 v4, 31, v4
	v_and_b32_e32 v39, v39, v40
	v_xor_b32_e32 v40, s25, v4
	v_xor_b32_e32 v4, s24, v4
	v_and_b32_e32 v37, v37, v4
	v_lshlrev_b32_e32 v4, 27, v5
	v_cmp_gt_i64_e64 s[24:25], 0, v[3:4]
	v_not_b32_e32 v4, v4
	v_ashrrev_i32_e32 v4, 31, v4
	v_xor_b32_e32 v5, s25, v4
	v_xor_b32_e32 v4, s24, v4
	; wave barrier
	ds_read_b32 v36, v38 offset:32
	v_and_b32_e32 v39, v39, v40
	v_and_b32_e32 v4, v37, v4
	;; [unrolled: 1-line block ×3, first 2 shown]
	v_mbcnt_lo_u32_b32 v37, v4, 0
	v_mbcnt_hi_u32_b32 v37, v5, v37
	v_cmp_ne_u64_e64 s[24:25], 0, v[4:5]
	v_cmp_eq_u32_e64 s[26:27], 0, v37
	s_and_b64 s[26:27], s[24:25], s[26:27]
	; wave barrier
	s_and_saveexec_b64 s[24:25], s[26:27]
	s_cbranch_execz .LBB15_35
; %bb.34:
	v_bcnt_u32_b32 v4, v4, 0
	v_bcnt_u32_b32 v4, v5, v4
	s_waitcnt lgkmcnt(0)
	v_add_u32_e32 v4, v36, v4
	ds_write_b32 v38, v4 offset:32
.LBB15_35:
	s_or_b64 exec, exec, s[24:25]
	v_lshrrev_b32_e32 v4, s68, v15
	v_and_b32_e32 v5, s33, v4
	v_mul_lo_u32 v4, v5, 36
	v_and_b32_e32 v40, 1, v5
	; wave barrier
	v_lshl_add_u32 v42, v33, 2, v4
	v_add_co_u32_e64 v4, s[24:25], -1, v40
	v_addc_co_u32_e64 v41, s[24:25], 0, -1, s[24:25]
	v_cmp_ne_u32_e64 s[24:25], 0, v40
	v_xor_b32_e32 v4, s24, v4
	v_xor_b32_e32 v40, s25, v41
	v_and_b32_e32 v41, exec_lo, v4
	v_lshlrev_b32_e32 v4, 30, v5
	v_cmp_gt_i64_e64 s[24:25], 0, v[3:4]
	v_not_b32_e32 v4, v4
	v_ashrrev_i32_e32 v4, 31, v4
	v_xor_b32_e32 v43, s25, v4
	v_xor_b32_e32 v4, s24, v4
	v_and_b32_e32 v41, v41, v4
	v_lshlrev_b32_e32 v4, 29, v5
	v_cmp_gt_i64_e64 s[24:25], 0, v[3:4]
	v_not_b32_e32 v4, v4
	v_and_b32_e32 v40, exec_hi, v40
	v_ashrrev_i32_e32 v4, 31, v4
	v_and_b32_e32 v40, v40, v43
	v_xor_b32_e32 v43, s25, v4
	v_xor_b32_e32 v4, s24, v4
	v_and_b32_e32 v41, v41, v4
	v_lshlrev_b32_e32 v4, 28, v5
	v_cmp_gt_i64_e64 s[24:25], 0, v[3:4]
	v_not_b32_e32 v4, v4
	v_ashrrev_i32_e32 v4, 31, v4
	v_and_b32_e32 v40, v40, v43
	v_xor_b32_e32 v43, s25, v4
	v_xor_b32_e32 v4, s24, v4
	v_and_b32_e32 v41, v41, v4
	v_lshlrev_b32_e32 v4, 27, v5
	v_cmp_gt_i64_e64 s[24:25], 0, v[3:4]
	v_not_b32_e32 v3, v4
	v_ashrrev_i32_e32 v3, 31, v3
	v_xor_b32_e32 v4, s25, v3
	v_xor_b32_e32 v3, s24, v3
	ds_read_b32 v39, v42 offset:32
	v_and_b32_e32 v40, v40, v43
	v_and_b32_e32 v3, v41, v3
	;; [unrolled: 1-line block ×3, first 2 shown]
	v_mbcnt_lo_u32_b32 v5, v3, 0
	v_mbcnt_hi_u32_b32 v40, v4, v5
	v_cmp_ne_u64_e64 s[24:25], 0, v[3:4]
	v_cmp_eq_u32_e64 s[26:27], 0, v40
	s_and_b64 s[26:27], s[24:25], s[26:27]
	; wave barrier
	s_and_saveexec_b64 s[24:25], s[26:27]
	s_cbranch_execz .LBB15_37
; %bb.36:
	v_bcnt_u32_b32 v3, v3, 0
	v_bcnt_u32_b32 v3, v4, v3
	s_waitcnt lgkmcnt(0)
	v_add_u32_e32 v3, v39, v3
	ds_write_b32 v42, v3 offset:32
.LBB15_37:
	s_or_b64 exec, exec, s[24:25]
	v_lshrrev_b32_e32 v3, s68, v18
	v_and_b32_e32 v5, s33, v3
	v_and_b32_e32 v4, 1, v5
	v_mul_lo_u32 v3, v5, 36
	v_add_co_u32_e64 v43, s[24:25], -1, v4
	v_addc_co_u32_e64 v44, s[24:25], 0, -1, s[24:25]
	v_cmp_ne_u32_e64 s[24:25], 0, v4
	v_xor_b32_e32 v4, s25, v44
	v_lshl_add_u32 v45, v33, 2, v3
	v_mov_b32_e32 v3, 0
	v_and_b32_e32 v44, exec_hi, v4
	v_lshlrev_b32_e32 v4, 30, v5
	v_xor_b32_e32 v43, s24, v43
	v_cmp_gt_i64_e64 s[24:25], 0, v[3:4]
	v_not_b32_e32 v4, v4
	v_ashrrev_i32_e32 v4, 31, v4
	v_and_b32_e32 v43, exec_lo, v43
	v_xor_b32_e32 v46, s25, v4
	v_xor_b32_e32 v4, s24, v4
	v_and_b32_e32 v43, v43, v4
	v_lshlrev_b32_e32 v4, 29, v5
	v_cmp_gt_i64_e64 s[24:25], 0, v[3:4]
	v_not_b32_e32 v4, v4
	v_ashrrev_i32_e32 v4, 31, v4
	v_and_b32_e32 v44, v44, v46
	v_xor_b32_e32 v46, s25, v4
	v_xor_b32_e32 v4, s24, v4
	v_and_b32_e32 v43, v43, v4
	v_lshlrev_b32_e32 v4, 28, v5
	v_cmp_gt_i64_e64 s[24:25], 0, v[3:4]
	v_not_b32_e32 v4, v4
	v_ashrrev_i32_e32 v4, 31, v4
	v_and_b32_e32 v44, v44, v46
	v_xor_b32_e32 v46, s25, v4
	v_xor_b32_e32 v4, s24, v4
	v_and_b32_e32 v43, v43, v4
	v_lshlrev_b32_e32 v4, 27, v5
	v_cmp_gt_i64_e64 s[24:25], 0, v[3:4]
	v_not_b32_e32 v4, v4
	v_ashrrev_i32_e32 v4, 31, v4
	v_xor_b32_e32 v5, s25, v4
	v_xor_b32_e32 v4, s24, v4
	; wave barrier
	ds_read_b32 v41, v45 offset:32
	v_and_b32_e32 v44, v44, v46
	v_and_b32_e32 v4, v43, v4
	;; [unrolled: 1-line block ×3, first 2 shown]
	v_mbcnt_lo_u32_b32 v43, v4, 0
	v_mbcnt_hi_u32_b32 v43, v5, v43
	v_cmp_ne_u64_e64 s[24:25], 0, v[4:5]
	v_cmp_eq_u32_e64 s[26:27], 0, v43
	s_and_b64 s[26:27], s[24:25], s[26:27]
	; wave barrier
	s_and_saveexec_b64 s[24:25], s[26:27]
	s_cbranch_execz .LBB15_39
; %bb.38:
	v_bcnt_u32_b32 v4, v4, 0
	v_bcnt_u32_b32 v4, v5, v4
	s_waitcnt lgkmcnt(0)
	v_add_u32_e32 v4, v41, v4
	ds_write_b32 v45, v4 offset:32
.LBB15_39:
	s_or_b64 exec, exec, s[24:25]
	v_lshrrev_b32_e32 v4, s68, v17
	v_and_b32_e32 v5, s33, v4
	v_mul_lo_u32 v4, v5, 36
	v_and_b32_e32 v46, 1, v5
	; wave barrier
	v_lshl_add_u32 v48, v33, 2, v4
	v_add_co_u32_e64 v4, s[24:25], -1, v46
	v_addc_co_u32_e64 v47, s[24:25], 0, -1, s[24:25]
	v_cmp_ne_u32_e64 s[24:25], 0, v46
	v_xor_b32_e32 v4, s24, v4
	v_xor_b32_e32 v46, s25, v47
	v_and_b32_e32 v47, exec_lo, v4
	v_lshlrev_b32_e32 v4, 30, v5
	v_cmp_gt_i64_e64 s[24:25], 0, v[3:4]
	v_not_b32_e32 v4, v4
	v_ashrrev_i32_e32 v4, 31, v4
	v_xor_b32_e32 v49, s25, v4
	v_xor_b32_e32 v4, s24, v4
	v_and_b32_e32 v47, v47, v4
	v_lshlrev_b32_e32 v4, 29, v5
	v_cmp_gt_i64_e64 s[24:25], 0, v[3:4]
	v_not_b32_e32 v4, v4
	v_and_b32_e32 v46, exec_hi, v46
	v_ashrrev_i32_e32 v4, 31, v4
	v_and_b32_e32 v46, v46, v49
	v_xor_b32_e32 v49, s25, v4
	v_xor_b32_e32 v4, s24, v4
	v_and_b32_e32 v47, v47, v4
	v_lshlrev_b32_e32 v4, 28, v5
	v_cmp_gt_i64_e64 s[24:25], 0, v[3:4]
	v_not_b32_e32 v4, v4
	v_ashrrev_i32_e32 v4, 31, v4
	v_and_b32_e32 v46, v46, v49
	v_xor_b32_e32 v49, s25, v4
	v_xor_b32_e32 v4, s24, v4
	v_and_b32_e32 v47, v47, v4
	v_lshlrev_b32_e32 v4, 27, v5
	v_cmp_gt_i64_e64 s[24:25], 0, v[3:4]
	v_not_b32_e32 v3, v4
	v_ashrrev_i32_e32 v3, 31, v3
	v_xor_b32_e32 v4, s25, v3
	v_xor_b32_e32 v3, s24, v3
	ds_read_b32 v44, v48 offset:32
	v_and_b32_e32 v46, v46, v49
	v_and_b32_e32 v3, v47, v3
	;; [unrolled: 1-line block ×3, first 2 shown]
	v_mbcnt_lo_u32_b32 v5, v3, 0
	v_mbcnt_hi_u32_b32 v46, v4, v5
	v_cmp_ne_u64_e64 s[24:25], 0, v[3:4]
	v_cmp_eq_u32_e64 s[26:27], 0, v46
	s_and_b64 s[26:27], s[24:25], s[26:27]
	; wave barrier
	s_and_saveexec_b64 s[24:25], s[26:27]
	s_cbranch_execz .LBB15_41
; %bb.40:
	v_bcnt_u32_b32 v3, v3, 0
	v_bcnt_u32_b32 v3, v4, v3
	s_waitcnt lgkmcnt(0)
	v_add_u32_e32 v3, v44, v3
	ds_write_b32 v48, v3 offset:32
.LBB15_41:
	s_or_b64 exec, exec, s[24:25]
	v_lshrrev_b32_e32 v3, s68, v20
	v_and_b32_e32 v5, s33, v3
	v_and_b32_e32 v4, 1, v5
	v_mul_lo_u32 v3, v5, 36
	v_add_co_u32_e64 v49, s[24:25], -1, v4
	v_addc_co_u32_e64 v50, s[24:25], 0, -1, s[24:25]
	v_cmp_ne_u32_e64 s[24:25], 0, v4
	v_xor_b32_e32 v4, s25, v50
	v_lshl_add_u32 v51, v33, 2, v3
	v_mov_b32_e32 v3, 0
	v_and_b32_e32 v50, exec_hi, v4
	v_lshlrev_b32_e32 v4, 30, v5
	v_xor_b32_e32 v49, s24, v49
	v_cmp_gt_i64_e64 s[24:25], 0, v[3:4]
	v_not_b32_e32 v4, v4
	v_ashrrev_i32_e32 v4, 31, v4
	v_and_b32_e32 v49, exec_lo, v49
	v_xor_b32_e32 v52, s25, v4
	v_xor_b32_e32 v4, s24, v4
	v_and_b32_e32 v49, v49, v4
	v_lshlrev_b32_e32 v4, 29, v5
	v_cmp_gt_i64_e64 s[24:25], 0, v[3:4]
	v_not_b32_e32 v4, v4
	v_ashrrev_i32_e32 v4, 31, v4
	v_and_b32_e32 v50, v50, v52
	v_xor_b32_e32 v52, s25, v4
	v_xor_b32_e32 v4, s24, v4
	v_and_b32_e32 v49, v49, v4
	v_lshlrev_b32_e32 v4, 28, v5
	v_cmp_gt_i64_e64 s[24:25], 0, v[3:4]
	v_not_b32_e32 v4, v4
	v_ashrrev_i32_e32 v4, 31, v4
	v_and_b32_e32 v50, v50, v52
	v_xor_b32_e32 v52, s25, v4
	v_xor_b32_e32 v4, s24, v4
	v_and_b32_e32 v49, v49, v4
	v_lshlrev_b32_e32 v4, 27, v5
	v_cmp_gt_i64_e64 s[24:25], 0, v[3:4]
	v_not_b32_e32 v4, v4
	v_ashrrev_i32_e32 v4, 31, v4
	v_xor_b32_e32 v5, s25, v4
	v_xor_b32_e32 v4, s24, v4
	; wave barrier
	ds_read_b32 v47, v51 offset:32
	v_and_b32_e32 v50, v50, v52
	v_and_b32_e32 v4, v49, v4
	;; [unrolled: 1-line block ×3, first 2 shown]
	v_mbcnt_lo_u32_b32 v49, v4, 0
	v_mbcnt_hi_u32_b32 v49, v5, v49
	v_cmp_ne_u64_e64 s[24:25], 0, v[4:5]
	v_cmp_eq_u32_e64 s[26:27], 0, v49
	s_and_b64 s[26:27], s[24:25], s[26:27]
	; wave barrier
	s_and_saveexec_b64 s[24:25], s[26:27]
	s_cbranch_execz .LBB15_43
; %bb.42:
	v_bcnt_u32_b32 v4, v4, 0
	v_bcnt_u32_b32 v4, v5, v4
	s_waitcnt lgkmcnt(0)
	v_add_u32_e32 v4, v47, v4
	ds_write_b32 v51, v4 offset:32
.LBB15_43:
	s_or_b64 exec, exec, s[24:25]
	v_lshrrev_b32_e32 v4, s68, v19
	v_and_b32_e32 v5, s33, v4
	v_mul_lo_u32 v4, v5, 36
	v_and_b32_e32 v52, 1, v5
	; wave barrier
	v_lshl_add_u32 v54, v33, 2, v4
	v_add_co_u32_e64 v4, s[24:25], -1, v52
	v_addc_co_u32_e64 v53, s[24:25], 0, -1, s[24:25]
	v_cmp_ne_u32_e64 s[24:25], 0, v52
	v_xor_b32_e32 v4, s24, v4
	v_xor_b32_e32 v52, s25, v53
	v_and_b32_e32 v53, exec_lo, v4
	v_lshlrev_b32_e32 v4, 30, v5
	v_cmp_gt_i64_e64 s[24:25], 0, v[3:4]
	v_not_b32_e32 v4, v4
	v_ashrrev_i32_e32 v4, 31, v4
	v_xor_b32_e32 v55, s25, v4
	v_xor_b32_e32 v4, s24, v4
	v_and_b32_e32 v53, v53, v4
	v_lshlrev_b32_e32 v4, 29, v5
	v_cmp_gt_i64_e64 s[24:25], 0, v[3:4]
	v_not_b32_e32 v4, v4
	v_and_b32_e32 v52, exec_hi, v52
	v_ashrrev_i32_e32 v4, 31, v4
	v_and_b32_e32 v52, v52, v55
	v_xor_b32_e32 v55, s25, v4
	v_xor_b32_e32 v4, s24, v4
	v_and_b32_e32 v53, v53, v4
	v_lshlrev_b32_e32 v4, 28, v5
	v_cmp_gt_i64_e64 s[24:25], 0, v[3:4]
	v_not_b32_e32 v4, v4
	v_ashrrev_i32_e32 v4, 31, v4
	v_and_b32_e32 v52, v52, v55
	v_xor_b32_e32 v55, s25, v4
	v_xor_b32_e32 v4, s24, v4
	v_and_b32_e32 v53, v53, v4
	v_lshlrev_b32_e32 v4, 27, v5
	v_cmp_gt_i64_e64 s[24:25], 0, v[3:4]
	v_not_b32_e32 v3, v4
	v_ashrrev_i32_e32 v3, 31, v3
	v_xor_b32_e32 v4, s25, v3
	v_xor_b32_e32 v3, s24, v3
	ds_read_b32 v50, v54 offset:32
	v_and_b32_e32 v52, v52, v55
	v_and_b32_e32 v3, v53, v3
	;; [unrolled: 1-line block ×3, first 2 shown]
	v_mbcnt_lo_u32_b32 v5, v3, 0
	v_mbcnt_hi_u32_b32 v52, v4, v5
	v_cmp_ne_u64_e64 s[24:25], 0, v[3:4]
	v_cmp_eq_u32_e64 s[26:27], 0, v52
	s_and_b64 s[26:27], s[24:25], s[26:27]
	; wave barrier
	s_and_saveexec_b64 s[24:25], s[26:27]
	s_cbranch_execz .LBB15_45
; %bb.44:
	v_bcnt_u32_b32 v3, v3, 0
	v_bcnt_u32_b32 v3, v4, v3
	s_waitcnt lgkmcnt(0)
	v_add_u32_e32 v3, v50, v3
	ds_write_b32 v54, v3 offset:32
.LBB15_45:
	s_or_b64 exec, exec, s[24:25]
	v_lshrrev_b32_e32 v3, s68, v22
	v_and_b32_e32 v5, s33, v3
	v_and_b32_e32 v4, 1, v5
	v_mul_lo_u32 v3, v5, 36
	v_add_co_u32_e64 v55, s[24:25], -1, v4
	v_addc_co_u32_e64 v57, s[24:25], 0, -1, s[24:25]
	v_cmp_ne_u32_e64 s[24:25], 0, v4
	v_xor_b32_e32 v4, s25, v57
	v_lshl_add_u32 v56, v33, 2, v3
	v_mov_b32_e32 v3, 0
	v_and_b32_e32 v57, exec_hi, v4
	v_lshlrev_b32_e32 v4, 30, v5
	v_xor_b32_e32 v55, s24, v55
	v_cmp_gt_i64_e64 s[24:25], 0, v[3:4]
	v_not_b32_e32 v4, v4
	v_ashrrev_i32_e32 v4, 31, v4
	v_and_b32_e32 v55, exec_lo, v55
	v_xor_b32_e32 v58, s25, v4
	v_xor_b32_e32 v4, s24, v4
	v_and_b32_e32 v55, v55, v4
	v_lshlrev_b32_e32 v4, 29, v5
	v_cmp_gt_i64_e64 s[24:25], 0, v[3:4]
	v_not_b32_e32 v4, v4
	v_ashrrev_i32_e32 v4, 31, v4
	v_and_b32_e32 v57, v57, v58
	v_xor_b32_e32 v58, s25, v4
	v_xor_b32_e32 v4, s24, v4
	v_and_b32_e32 v55, v55, v4
	v_lshlrev_b32_e32 v4, 28, v5
	v_cmp_gt_i64_e64 s[24:25], 0, v[3:4]
	v_not_b32_e32 v4, v4
	v_ashrrev_i32_e32 v4, 31, v4
	v_and_b32_e32 v57, v57, v58
	v_xor_b32_e32 v58, s25, v4
	v_xor_b32_e32 v4, s24, v4
	v_and_b32_e32 v55, v55, v4
	v_lshlrev_b32_e32 v4, 27, v5
	v_cmp_gt_i64_e64 s[24:25], 0, v[3:4]
	v_not_b32_e32 v4, v4
	v_ashrrev_i32_e32 v4, 31, v4
	v_xor_b32_e32 v5, s25, v4
	v_xor_b32_e32 v4, s24, v4
	; wave barrier
	ds_read_b32 v53, v56 offset:32
	v_and_b32_e32 v57, v57, v58
	v_and_b32_e32 v4, v55, v4
	;; [unrolled: 1-line block ×3, first 2 shown]
	v_mbcnt_lo_u32_b32 v55, v4, 0
	v_mbcnt_hi_u32_b32 v55, v5, v55
	v_cmp_ne_u64_e64 s[24:25], 0, v[4:5]
	v_cmp_eq_u32_e64 s[26:27], 0, v55
	s_and_b64 s[26:27], s[24:25], s[26:27]
	; wave barrier
	s_and_saveexec_b64 s[24:25], s[26:27]
	s_cbranch_execz .LBB15_47
; %bb.46:
	v_bcnt_u32_b32 v4, v4, 0
	v_bcnt_u32_b32 v4, v5, v4
	s_waitcnt lgkmcnt(0)
	v_add_u32_e32 v4, v53, v4
	ds_write_b32 v56, v4 offset:32
.LBB15_47:
	s_or_b64 exec, exec, s[24:25]
	v_lshrrev_b32_e32 v4, s68, v21
	v_and_b32_e32 v58, s33, v4
	v_mul_lo_u32 v4, v58, 36
	v_and_b32_e32 v59, 1, v58
	; wave barrier
	v_lshl_add_u32 v57, v33, 2, v4
	v_add_co_u32_e64 v4, s[24:25], -1, v59
	v_addc_co_u32_e64 v33, s[24:25], 0, -1, s[24:25]
	v_cmp_ne_u32_e64 s[24:25], 0, v59
	v_xor_b32_e32 v4, s24, v4
	v_and_b32_e32 v59, exec_lo, v4
	v_lshlrev_b32_e32 v4, 30, v58
	v_xor_b32_e32 v33, s25, v33
	v_cmp_gt_i64_e64 s[24:25], 0, v[3:4]
	v_not_b32_e32 v4, v4
	v_ashrrev_i32_e32 v4, 31, v4
	v_xor_b32_e32 v60, s25, v4
	v_xor_b32_e32 v4, s24, v4
	v_and_b32_e32 v59, v59, v4
	v_lshlrev_b32_e32 v4, 29, v58
	v_cmp_gt_i64_e64 s[24:25], 0, v[3:4]
	v_not_b32_e32 v4, v4
	v_and_b32_e32 v33, exec_hi, v33
	v_ashrrev_i32_e32 v4, 31, v4
	v_and_b32_e32 v33, v33, v60
	v_xor_b32_e32 v60, s25, v4
	v_xor_b32_e32 v4, s24, v4
	v_and_b32_e32 v59, v59, v4
	v_lshlrev_b32_e32 v4, 28, v58
	v_cmp_gt_i64_e64 s[24:25], 0, v[3:4]
	v_not_b32_e32 v4, v4
	v_ashrrev_i32_e32 v4, 31, v4
	v_and_b32_e32 v33, v33, v60
	v_xor_b32_e32 v60, s25, v4
	v_xor_b32_e32 v4, s24, v4
	v_and_b32_e32 v59, v59, v4
	v_lshlrev_b32_e32 v4, 27, v58
	v_cmp_gt_i64_e64 s[24:25], 0, v[3:4]
	v_not_b32_e32 v3, v4
	v_ashrrev_i32_e32 v3, 31, v3
	v_xor_b32_e32 v4, s25, v3
	v_xor_b32_e32 v3, s24, v3
	ds_read_b32 v5, v57 offset:32
	v_and_b32_e32 v33, v33, v60
	v_and_b32_e32 v3, v59, v3
	;; [unrolled: 1-line block ×3, first 2 shown]
	v_mbcnt_lo_u32_b32 v33, v3, 0
	v_mbcnt_hi_u32_b32 v33, v4, v33
	v_cmp_ne_u64_e64 s[24:25], 0, v[3:4]
	v_cmp_eq_u32_e64 s[26:27], 0, v33
	s_and_b64 s[26:27], s[24:25], s[26:27]
	; wave barrier
	s_and_saveexec_b64 s[24:25], s[26:27]
	s_cbranch_execz .LBB15_49
; %bb.48:
	v_bcnt_u32_b32 v3, v3, 0
	v_bcnt_u32_b32 v3, v4, v3
	s_waitcnt lgkmcnt(0)
	v_add_u32_e32 v3, v5, v3
	ds_write_b32 v57, v3 offset:32
.LBB15_49:
	s_or_b64 exec, exec, s[24:25]
	; wave barrier
	s_waitcnt lgkmcnt(0)
	s_barrier
	ds_read_b32 v3, v12 offset:32
	v_and_b32_e32 v4, 15, v6
	v_cmp_ne_u32_e64 s[24:25], 0, v4
	v_min_u32_e32 v23, 0x1c0, v23
	v_or_b32_e32 v23, 63, v23
	s_waitcnt lgkmcnt(0)
	v_mov_b32_dpp v58, v3 row_shr:1 row_mask:0xf bank_mask:0xf
	v_cndmask_b32_e64 v58, 0, v58, s[24:25]
	v_add_u32_e32 v3, v58, v3
	v_cmp_lt_u32_e64 s[24:25], 1, v4
	s_nop 0
	v_mov_b32_dpp v58, v3 row_shr:2 row_mask:0xf bank_mask:0xf
	v_cndmask_b32_e64 v58, 0, v58, s[24:25]
	v_add_u32_e32 v3, v3, v58
	v_cmp_lt_u32_e64 s[24:25], 3, v4
	s_nop 0
	;; [unrolled: 5-line block ×3, first 2 shown]
	v_mov_b32_dpp v58, v3 row_shr:8 row_mask:0xf bank_mask:0xf
	v_cndmask_b32_e64 v4, 0, v58, s[24:25]
	v_add_u32_e32 v3, v3, v4
	v_bfe_i32 v58, v6, 4, 1
	v_cmp_lt_u32_e64 s[24:25], 31, v6
	v_mov_b32_dpp v4, v3 row_bcast:15 row_mask:0xf bank_mask:0xf
	v_and_b32_e32 v4, v58, v4
	v_add_u32_e32 v3, v3, v4
	s_nop 1
	v_mov_b32_dpp v4, v3 row_bcast:31 row_mask:0xf bank_mask:0xf
	v_cndmask_b32_e64 v4, 0, v4, s[24:25]
	v_add_u32_e32 v3, v3, v4
	v_lshrrev_b32_e32 v4, 6, v0
	v_cmp_eq_u32_e64 s[24:25], v0, v23
	s_and_saveexec_b64 s[26:27], s[24:25]
; %bb.50:
	v_lshlrev_b32_e32 v23, 2, v4
	ds_write_b32 v23, v3
; %bb.51:
	s_or_b64 exec, exec, s[26:27]
	v_cmp_gt_u32_e64 s[24:25], 8, v0
	s_waitcnt lgkmcnt(0)
	s_barrier
	s_and_saveexec_b64 s[26:27], s[24:25]
	s_cbranch_execz .LBB15_53
; %bb.52:
	ds_read_b32 v23, v12
	v_and_b32_e32 v58, 7, v6
	v_cmp_ne_u32_e64 s[24:25], 0, v58
	s_waitcnt lgkmcnt(0)
	v_mov_b32_dpp v59, v23 row_shr:1 row_mask:0xf bank_mask:0xf
	v_cndmask_b32_e64 v59, 0, v59, s[24:25]
	v_add_u32_e32 v23, v59, v23
	v_cmp_lt_u32_e64 s[24:25], 1, v58
	s_nop 0
	v_mov_b32_dpp v59, v23 row_shr:2 row_mask:0xf bank_mask:0xf
	v_cndmask_b32_e64 v59, 0, v59, s[24:25]
	v_add_u32_e32 v23, v23, v59
	v_cmp_lt_u32_e64 s[24:25], 3, v58
	s_nop 0
	v_mov_b32_dpp v59, v23 row_shr:4 row_mask:0xf bank_mask:0xf
	v_cndmask_b32_e64 v58, 0, v59, s[24:25]
	v_add_u32_e32 v23, v23, v58
	ds_write_b32 v12, v23
.LBB15_53:
	s_or_b64 exec, exec, s[26:27]
	v_cmp_lt_u32_e64 s[24:25], 63, v0
	v_mov_b32_e32 v23, 0
	s_waitcnt lgkmcnt(0)
	s_barrier
	s_and_saveexec_b64 s[26:27], s[24:25]
; %bb.54:
	v_lshl_add_u32 v4, v4, 2, -4
	ds_read_b32 v23, v4
; %bb.55:
	s_or_b64 exec, exec, s[26:27]
	v_add_u32_e32 v4, -1, v6
	v_and_b32_e32 v58, 64, v6
	v_cmp_lt_i32_e64 s[24:25], v4, v58
	v_cndmask_b32_e64 v4, v4, v6, s[24:25]
	s_waitcnt lgkmcnt(0)
	v_add_u32_e32 v3, v23, v3
	v_lshlrev_b32_e32 v4, 2, v4
	ds_bpermute_b32 v3, v4, v3
	v_cmp_eq_u32_e64 s[24:25], 0, v6
	v_cmp_gt_u32_e64 s[26:27], 32, v0
	s_waitcnt lgkmcnt(0)
	v_cndmask_b32_e64 v3, v3, v23, s[24:25]
	ds_write_b32 v12, v3 offset:32
	s_waitcnt lgkmcnt(0)
	s_barrier
	ds_read_b32 v62, v26 offset:32
	ds_read_b32 v61, v28 offset:32
	;; [unrolled: 1-line block ×12, first 2 shown]
	v_mov_b32_e32 v3, 0
	v_cmp_lt_u32_e64 s[24:25], 31, v0
	v_mov_b32_e32 v4, 0
                                        ; implicit-def: $vgpr23
	s_and_saveexec_b64 s[30:31], s[26:27]
	s_cbranch_execz .LBB15_59
; %bb.56:
	v_mul_u32_u24_e32 v3, 36, v0
	ds_read_b32 v3, v3 offset:32
	v_add_u32_e32 v6, 1, v0
	v_cmp_ne_u32_e64 s[28:29], 32, v6
	v_mov_b32_e32 v4, 0x1800
	s_and_saveexec_b64 s[34:35], s[28:29]
; %bb.57:
	v_mul_u32_u24_e32 v4, 36, v6
	ds_read_b32 v4, v4 offset:32
; %bb.58:
	s_or_b64 exec, exec, s[34:35]
	s_waitcnt lgkmcnt(0)
	v_sub_u32_e32 v23, v4, v3
	v_mov_b32_e32 v4, 0
.LBB15_59:
	s_or_b64 exec, exec, s[30:31]
	v_lshlrev_b32_e32 v24, 2, v24
	s_waitcnt lgkmcnt(11)
	v_lshl_add_u32 v24, v62, 2, v24
	s_waitcnt lgkmcnt(0)
	s_barrier
	ds_write_b32 v24, v8 offset:256
	v_lshlrev_b32_e32 v8, 2, v61
	v_lshlrev_b32_e32 v27, 2, v27
	v_lshlrev_b32_e32 v25, 2, v25
	v_add3_u32 v25, v8, v27, v25
	ds_write_b32 v25, v7 offset:256
	v_lshlrev_b32_e32 v7, 2, v26
	v_lshlrev_b32_e32 v8, 2, v30
	v_lshlrev_b32_e32 v26, 2, v29
	v_add3_u32 v26, v7, v8, v26
	;; [unrolled: 5-line block ×4, first 2 shown]
	v_lshlrev_b32_e32 v7, 2, v59
	v_lshlrev_b32_e32 v8, 2, v40
	;; [unrolled: 1-line block ×3, first 2 shown]
	ds_write_b32 v28, v16 offset:256
	v_add3_u32 v16, v7, v8, v9
	v_lshlrev_b32_e32 v7, 2, v58
	v_lshlrev_b32_e32 v8, 2, v43
	;; [unrolled: 1-line block ×3, first 2 shown]
	v_add3_u32 v29, v7, v8, v9
	v_lshlrev_b32_e32 v7, 2, v45
	v_lshlrev_b32_e32 v8, 2, v46
	;; [unrolled: 1-line block ×3, first 2 shown]
	ds_write_b32 v16, v15 offset:256
	ds_write_b32 v29, v18 offset:256
	v_add3_u32 v18, v7, v8, v9
	v_lshlrev_b32_e32 v7, 2, v42
	v_lshlrev_b32_e32 v8, 2, v49
	v_lshlrev_b32_e32 v9, 2, v47
	ds_write_b32 v18, v17 offset:256
	v_add3_u32 v17, v7, v8, v9
	v_lshlrev_b32_e32 v7, 2, v38
	v_lshlrev_b32_e32 v8, 2, v52
	v_lshlrev_b32_e32 v9, 2, v50
	;; [unrolled: 5-line block ×4, first 2 shown]
	v_mov_b32_e32 v6, 0
	ds_write_b32 v19, v22 offset:256
	v_add3_u32 v22, v7, v8, v5
	v_lshlrev_b32_e32 v15, 3, v0
	ds_write_b32 v22, v21 offset:256
	s_waitcnt lgkmcnt(0)
	s_barrier
	s_and_saveexec_b64 s[28:29], s[26:27]
	s_cbranch_execz .LBB15_69
; %bb.60:
	v_lshl_add_u32 v5, s6, 5, v0
	v_lshlrev_b64 v[7:8], 2, v[5:6]
	v_mov_b32_e32 v21, s73
	v_add_co_u32_e64 v7, s[26:27], s72, v7
	v_addc_co_u32_e64 v8, s[26:27], v21, v8, s[26:27]
	v_or_b32_e32 v5, 2.0, v23
	s_mov_b64 s[30:31], 0
	s_brev_b32 s38, -4
	s_mov_b32 s39, s6
	v_mov_b32_e32 v30, 0
	global_store_dword v[7:8], v5, off
                                        ; implicit-def: $sgpr26_sgpr27
	s_branch .LBB15_63
.LBB15_61:                              ;   in Loop: Header=BB15_63 Depth=1
	s_or_b64 exec, exec, s[36:37]
.LBB15_62:                              ;   in Loop: Header=BB15_63 Depth=1
	s_or_b64 exec, exec, s[34:35]
	v_and_b32_e32 v9, 0x3fffffff, v5
	v_add_u32_e32 v30, v9, v30
	v_cmp_gt_i32_e64 s[26:27], -2.0, v5
	s_and_b64 s[34:35], exec, s[26:27]
	s_or_b64 s[30:31], s[34:35], s[30:31]
	s_andn2_b64 exec, exec, s[30:31]
	s_cbranch_execz .LBB15_68
.LBB15_63:                              ; =>This Loop Header: Depth=1
                                        ;     Child Loop BB15_66 Depth 2
	s_or_b64 s[26:27], s[26:27], exec
	s_cmp_eq_u32 s39, 0
	s_cbranch_scc1 .LBB15_67
; %bb.64:                               ;   in Loop: Header=BB15_63 Depth=1
	s_add_i32 s39, s39, -1
	v_lshl_or_b32 v5, s39, 5, v0
	v_lshlrev_b64 v[9:10], 2, v[5:6]
	v_add_co_u32_e64 v9, s[26:27], s72, v9
	v_addc_co_u32_e64 v10, s[26:27], v21, v10, s[26:27]
	global_load_dword v5, v[9:10], off glc
	s_waitcnt vmcnt(0)
	v_cmp_gt_u32_e64 s[26:27], 2.0, v5
	s_and_saveexec_b64 s[34:35], s[26:27]
	s_cbranch_execz .LBB15_62
; %bb.65:                               ;   in Loop: Header=BB15_63 Depth=1
	s_mov_b64 s[36:37], 0
.LBB15_66:                              ;   Parent Loop BB15_63 Depth=1
                                        ; =>  This Inner Loop Header: Depth=2
	global_load_dword v5, v[9:10], off glc
	s_waitcnt vmcnt(0)
	v_cmp_lt_u32_e64 s[26:27], s38, v5
	s_or_b64 s[36:37], s[26:27], s[36:37]
	s_andn2_b64 exec, exec, s[36:37]
	s_cbranch_execnz .LBB15_66
	s_branch .LBB15_61
.LBB15_67:                              ;   in Loop: Header=BB15_63 Depth=1
                                        ; implicit-def: $sgpr39
	s_and_b64 s[34:35], exec, s[26:27]
	s_or_b64 s[30:31], s[34:35], s[30:31]
	s_andn2_b64 exec, exec, s[30:31]
	s_cbranch_execnz .LBB15_63
.LBB15_68:
	s_or_b64 exec, exec, s[30:31]
	v_add_u32_e32 v5, v30, v23
	v_or_b32_e32 v5, 0x80000000, v5
	global_store_dword v[7:8], v5, off
	global_load_dwordx2 v[5:6], v15, s[64:65]
	v_sub_co_u32_e64 v7, s[26:27], v30, v3
	v_subb_co_u32_e64 v8, s[26:27], 0, v4, s[26:27]
	s_waitcnt vmcnt(0)
	v_add_co_u32_e64 v5, s[26:27], v7, v5
	v_addc_co_u32_e64 v6, s[26:27], v8, v6, s[26:27]
	ds_write_b64 v15, v[5:6]
.LBB15_69:
	s_or_b64 exec, exec, s[28:29]
	v_cmp_gt_u32_e64 s[26:27], s75, v0
	s_waitcnt lgkmcnt(0)
	s_barrier
	s_and_saveexec_b64 s[30:31], s[26:27]
	s_cbranch_execz .LBB15_71
; %bb.70:
	v_sub_u32_e32 v5, v15, v12
	ds_read_b32 v7, v5 offset:256
	v_mov_b32_e32 v8, s59
	s_waitcnt lgkmcnt(0)
	v_lshrrev_b32_e32 v5, s68, v7
	v_and_b32_e32 v5, s33, v5
	v_lshlrev_b32_e32 v5, 3, v5
	ds_read_b64 v[5:6], v5
	v_xor_b32_e32 v7, 0x7fffffff, v7
	s_waitcnt lgkmcnt(0)
	v_lshlrev_b64 v[5:6], 2, v[5:6]
	v_add_co_u32_e64 v5, s[28:29], s58, v5
	v_addc_co_u32_e64 v6, s[28:29], v8, v6, s[28:29]
	v_add_co_u32_e64 v5, s[28:29], v5, v12
	v_addc_co_u32_e64 v6, s[28:29], 0, v6, s[28:29]
	global_store_dword v[5:6], v7, off
.LBB15_71:
	s_or_b64 exec, exec, s[30:31]
	v_or_b32_e32 v5, 0x200, v0
	v_cmp_gt_u32_e64 s[28:29], s75, v5
	s_and_saveexec_b64 s[34:35], s[28:29]
	s_cbranch_execz .LBB15_73
; %bb.72:
	v_sub_u32_e32 v5, v15, v12
	ds_read_b32 v7, v5 offset:2304
	v_mov_b32_e32 v8, s59
	s_waitcnt lgkmcnt(0)
	v_lshrrev_b32_e32 v5, s68, v7
	v_and_b32_e32 v5, s33, v5
	v_lshlrev_b32_e32 v5, 3, v5
	ds_read_b64 v[5:6], v5
	v_xor_b32_e32 v7, 0x7fffffff, v7
	s_waitcnt lgkmcnt(0)
	v_lshlrev_b64 v[5:6], 2, v[5:6]
	v_add_co_u32_e64 v5, s[30:31], s58, v5
	v_addc_co_u32_e64 v6, s[30:31], v8, v6, s[30:31]
	v_add_co_u32_e64 v5, s[30:31], v5, v12
	v_addc_co_u32_e64 v6, s[30:31], 0, v6, s[30:31]
	global_store_dword v[5:6], v7, off offset:2048
.LBB15_73:
	s_or_b64 exec, exec, s[34:35]
	v_or_b32_e32 v5, 0x400, v0
	v_cmp_gt_u32_e64 s[30:31], s75, v5
	v_lshlrev_b32_e32 v7, 2, v5
	s_and_saveexec_b64 s[36:37], s[30:31]
	s_cbranch_execz .LBB15_75
; %bb.74:
	v_sub_u32_e32 v5, v15, v12
	ds_read_b32 v8, v5 offset:4352
	v_mov_b32_e32 v9, s59
	s_waitcnt lgkmcnt(0)
	v_lshrrev_b32_e32 v5, s68, v8
	v_and_b32_e32 v5, s33, v5
	v_lshlrev_b32_e32 v5, 3, v5
	ds_read_b64 v[5:6], v5
	v_xor_b32_e32 v8, 0x7fffffff, v8
	s_waitcnt lgkmcnt(0)
	v_lshlrev_b64 v[5:6], 2, v[5:6]
	v_add_co_u32_e64 v5, s[34:35], s58, v5
	v_addc_co_u32_e64 v6, s[34:35], v9, v6, s[34:35]
	v_add_co_u32_e64 v5, s[34:35], v5, v7
	v_addc_co_u32_e64 v6, s[34:35], 0, v6, s[34:35]
	global_store_dword v[5:6], v8, off
.LBB15_75:
	s_or_b64 exec, exec, s[36:37]
	v_or_b32_e32 v5, 0x600, v0
	v_cmp_gt_u32_e64 s[34:35], s75, v5
	v_lshlrev_b32_e32 v8, 2, v5
	s_and_saveexec_b64 s[38:39], s[34:35]
	s_cbranch_execz .LBB15_77
; %bb.76:
	v_sub_u32_e32 v5, v15, v12
	ds_read_b32 v9, v5 offset:6400
	v_mov_b32_e32 v10, s59
	s_waitcnt lgkmcnt(0)
	v_lshrrev_b32_e32 v5, s68, v9
	v_and_b32_e32 v5, s33, v5
	v_lshlrev_b32_e32 v5, 3, v5
	ds_read_b64 v[5:6], v5
	v_xor_b32_e32 v9, 0x7fffffff, v9
	s_waitcnt lgkmcnt(0)
	v_lshlrev_b64 v[5:6], 2, v[5:6]
	v_add_co_u32_e64 v5, s[36:37], s58, v5
	v_addc_co_u32_e64 v6, s[36:37], v10, v6, s[36:37]
	v_add_co_u32_e64 v5, s[36:37], v5, v8
	v_addc_co_u32_e64 v6, s[36:37], 0, v6, s[36:37]
	global_store_dword v[5:6], v9, off
.LBB15_77:
	;; [unrolled: 24-line block ×7, first 2 shown]
	s_or_b64 exec, exec, s[48:49]
	v_or_b32_e32 v5, 0x1200, v0
	v_cmp_gt_u32_e64 s[46:47], s75, v5
	v_lshlrev_b32_e32 v32, 2, v5
	s_and_saveexec_b64 s[50:51], s[46:47]
	s_cbranch_execz .LBB15_89
; %bb.88:
	ds_read_b32 v33, v12 offset:18688
	v_mov_b32_e32 v34, s59
	s_waitcnt lgkmcnt(0)
	v_lshrrev_b32_e32 v5, s68, v33
	v_and_b32_e32 v5, s33, v5
	v_lshlrev_b32_e32 v5, 3, v5
	ds_read_b64 v[5:6], v5
	v_xor_b32_e32 v33, 0x7fffffff, v33
	s_waitcnt lgkmcnt(0)
	v_lshlrev_b64 v[5:6], 2, v[5:6]
	v_add_co_u32_e64 v5, s[48:49], s58, v5
	v_addc_co_u32_e64 v6, s[48:49], v34, v6, s[48:49]
	v_add_co_u32_e64 v5, s[48:49], v5, v32
	v_addc_co_u32_e64 v6, s[48:49], 0, v6, s[48:49]
	global_store_dword v[5:6], v33, off
.LBB15_89:
	s_or_b64 exec, exec, s[50:51]
	v_or_b32_e32 v5, 0x1400, v0
	v_cmp_gt_u32_e64 s[48:49], s75, v5
	v_lshlrev_b32_e32 v33, 2, v5
	s_and_saveexec_b64 s[54:55], s[48:49]
	s_cbranch_execz .LBB15_91
; %bb.90:
	ds_read_b32 v34, v12 offset:20736
	v_mov_b32_e32 v35, s59
	s_waitcnt lgkmcnt(0)
	v_lshrrev_b32_e32 v5, s68, v34
	v_and_b32_e32 v5, s33, v5
	v_lshlrev_b32_e32 v5, 3, v5
	ds_read_b64 v[5:6], v5
	v_xor_b32_e32 v34, 0x7fffffff, v34
	s_waitcnt lgkmcnt(0)
	v_lshlrev_b64 v[5:6], 2, v[5:6]
	v_add_co_u32_e64 v5, s[50:51], s58, v5
	v_addc_co_u32_e64 v6, s[50:51], v35, v6, s[50:51]
	v_add_co_u32_e64 v5, s[50:51], v5, v33
	v_addc_co_u32_e64 v6, s[50:51], 0, v6, s[50:51]
	global_store_dword v[5:6], v34, off
.LBB15_91:
	s_or_b64 exec, exec, s[54:55]
	v_or_b32_e32 v5, 0x1600, v0
	v_cmp_gt_u32_e64 s[50:51], s75, v5
	v_lshlrev_b32_e32 v34, 2, v5
	s_and_saveexec_b64 s[76:77], s[50:51]
	s_cbranch_execz .LBB15_93
; %bb.92:
	ds_read_b32 v35, v12 offset:22784
	v_mov_b32_e32 v36, s59
	s_waitcnt lgkmcnt(0)
	v_lshrrev_b32_e32 v5, s68, v35
	v_and_b32_e32 v5, s33, v5
	v_lshlrev_b32_e32 v5, 3, v5
	ds_read_b64 v[5:6], v5
	v_xor_b32_e32 v35, 0x7fffffff, v35
	s_waitcnt lgkmcnt(0)
	v_lshlrev_b64 v[5:6], 2, v[5:6]
	v_add_co_u32_e64 v5, s[54:55], s58, v5
	v_addc_co_u32_e64 v6, s[54:55], v36, v6, s[54:55]
	v_add_co_u32_e64 v5, s[54:55], v5, v34
	v_addc_co_u32_e64 v6, s[54:55], 0, v6, s[54:55]
	global_store_dword v[5:6], v35, off
.LBB15_93:
	s_or_b64 exec, exec, s[76:77]
	s_add_u32 s54, s60, s70
	s_addc_u32 s55, s61, s71
	v_mov_b32_e32 v5, s55
	v_add_co_u32_e64 v6, s[54:55], s54, v13
	v_addc_co_u32_e64 v13, s[54:55], 0, v5, s[54:55]
	v_add_co_u32_e64 v5, s[54:55], v6, v14
	v_addc_co_u32_e64 v6, s[54:55], 0, v13, s[54:55]
                                        ; implicit-def: $vgpr13
	s_and_saveexec_b64 s[54:55], vcc
	s_xor_b64 s[54:55], exec, s[54:55]
	s_cbranch_execz .LBB15_105
; %bb.94:
	global_load_dword v13, v[5:6], off
	s_or_b64 exec, exec, s[54:55]
                                        ; implicit-def: $vgpr14
	s_and_saveexec_b64 s[54:55], s[0:1]
	s_cbranch_execnz .LBB15_106
.LBB15_95:
	s_or_b64 exec, exec, s[54:55]
                                        ; implicit-def: $vgpr35
	s_and_saveexec_b64 s[0:1], s[2:3]
	s_cbranch_execz .LBB15_107
.LBB15_96:
	global_load_dword v35, v[5:6], off offset:512
	s_or_b64 exec, exec, s[0:1]
                                        ; implicit-def: $vgpr36
	s_and_saveexec_b64 s[0:1], s[52:53]
	s_cbranch_execnz .LBB15_108
.LBB15_97:
	s_or_b64 exec, exec, s[0:1]
                                        ; implicit-def: $vgpr38
	s_and_saveexec_b64 s[0:1], s[8:9]
	s_cbranch_execz .LBB15_109
.LBB15_98:
	global_load_dword v38, v[5:6], off offset:1024
	s_or_b64 exec, exec, s[0:1]
                                        ; implicit-def: $vgpr40
	s_and_saveexec_b64 s[0:1], s[10:11]
	s_cbranch_execnz .LBB15_110
.LBB15_99:
	s_or_b64 exec, exec, s[0:1]
                                        ; implicit-def: $vgpr42
	s_and_saveexec_b64 s[0:1], s[12:13]
	s_cbranch_execz .LBB15_111
.LBB15_100:
	global_load_dword v42, v[5:6], off offset:1536
	s_or_b64 exec, exec, s[0:1]
                                        ; implicit-def: $vgpr45
	s_and_saveexec_b64 s[0:1], s[14:15]
	s_cbranch_execnz .LBB15_112
.LBB15_101:
	s_or_b64 exec, exec, s[0:1]
                                        ; implicit-def: $vgpr47
	s_and_saveexec_b64 s[0:1], s[16:17]
	s_cbranch_execz .LBB15_113
.LBB15_102:
	global_load_dword v47, v[5:6], off offset:2048
	s_or_b64 exec, exec, s[0:1]
                                        ; implicit-def: $vgpr49
	s_and_saveexec_b64 s[0:1], s[18:19]
	s_cbranch_execnz .LBB15_114
.LBB15_103:
	s_or_b64 exec, exec, s[0:1]
                                        ; implicit-def: $vgpr52
	s_and_saveexec_b64 s[0:1], s[20:21]
	s_cbranch_execz .LBB15_115
.LBB15_104:
	global_load_dword v52, v[5:6], off offset:2560
	s_or_b64 exec, exec, s[0:1]
                                        ; implicit-def: $vgpr53
	s_and_saveexec_b64 s[0:1], s[22:23]
	s_cbranch_execnz .LBB15_116
	s_branch .LBB15_117
.LBB15_105:
	s_or_b64 exec, exec, s[54:55]
                                        ; implicit-def: $vgpr14
	s_and_saveexec_b64 s[54:55], s[0:1]
	s_cbranch_execz .LBB15_95
.LBB15_106:
	global_load_dword v14, v[5:6], off offset:256
	s_or_b64 exec, exec, s[54:55]
                                        ; implicit-def: $vgpr35
	s_and_saveexec_b64 s[0:1], s[2:3]
	s_cbranch_execnz .LBB15_96
.LBB15_107:
	s_or_b64 exec, exec, s[0:1]
                                        ; implicit-def: $vgpr36
	s_and_saveexec_b64 s[0:1], s[52:53]
	s_cbranch_execz .LBB15_97
.LBB15_108:
	global_load_dword v36, v[5:6], off offset:768
	s_or_b64 exec, exec, s[0:1]
                                        ; implicit-def: $vgpr38
	s_and_saveexec_b64 s[0:1], s[8:9]
	s_cbranch_execnz .LBB15_98
.LBB15_109:
	s_or_b64 exec, exec, s[0:1]
                                        ; implicit-def: $vgpr40
	s_and_saveexec_b64 s[0:1], s[10:11]
	s_cbranch_execz .LBB15_99
.LBB15_110:
	global_load_dword v40, v[5:6], off offset:1280
	s_or_b64 exec, exec, s[0:1]
                                        ; implicit-def: $vgpr42
	s_and_saveexec_b64 s[0:1], s[12:13]
	s_cbranch_execnz .LBB15_100
.LBB15_111:
	s_or_b64 exec, exec, s[0:1]
                                        ; implicit-def: $vgpr45
	s_and_saveexec_b64 s[0:1], s[14:15]
	s_cbranch_execz .LBB15_101
.LBB15_112:
	global_load_dword v45, v[5:6], off offset:1792
	s_or_b64 exec, exec, s[0:1]
                                        ; implicit-def: $vgpr47
	s_and_saveexec_b64 s[0:1], s[16:17]
	s_cbranch_execnz .LBB15_102
.LBB15_113:
	s_or_b64 exec, exec, s[0:1]
                                        ; implicit-def: $vgpr49
	s_and_saveexec_b64 s[0:1], s[18:19]
	s_cbranch_execz .LBB15_103
.LBB15_114:
	global_load_dword v49, v[5:6], off offset:2304
	s_or_b64 exec, exec, s[0:1]
                                        ; implicit-def: $vgpr52
	s_and_saveexec_b64 s[0:1], s[20:21]
	s_cbranch_execnz .LBB15_104
.LBB15_115:
	s_or_b64 exec, exec, s[0:1]
                                        ; implicit-def: $vgpr53
	s_and_saveexec_b64 s[0:1], s[22:23]
	s_cbranch_execz .LBB15_117
.LBB15_116:
	global_load_dword v53, v[5:6], off offset:2816
.LBB15_117:
	s_or_b64 exec, exec, s[0:1]
	v_mov_b32_e32 v50, 0
	v_mov_b32_e32 v54, 0
	s_and_saveexec_b64 s[0:1], s[26:27]
	s_cbranch_execz .LBB15_119
; %bb.118:
	ds_read_b32 v5, v12 offset:256
	s_waitcnt lgkmcnt(0)
	v_lshrrev_b32_e32 v5, s68, v5
	v_and_b32_e32 v54, s33, v5
.LBB15_119:
	s_or_b64 exec, exec, s[0:1]
	s_and_saveexec_b64 s[0:1], s[28:29]
	s_cbranch_execz .LBB15_121
; %bb.120:
	ds_read_b32 v5, v12 offset:2304
	s_waitcnt lgkmcnt(0)
	v_lshrrev_b32_e32 v5, s68, v5
	v_and_b32_e32 v50, s33, v5
.LBB15_121:
	s_or_b64 exec, exec, s[0:1]
	v_mov_b32_e32 v46, 0
	v_mov_b32_e32 v51, 0
	s_and_saveexec_b64 s[0:1], s[30:31]
	s_cbranch_execz .LBB15_123
; %bb.122:
	ds_read_b32 v5, v12 offset:4352
	s_waitcnt lgkmcnt(0)
	v_lshrrev_b32_e32 v5, s68, v5
	v_and_b32_e32 v51, s33, v5
.LBB15_123:
	s_or_b64 exec, exec, s[0:1]
	s_and_saveexec_b64 s[0:1], s[34:35]
	s_cbranch_execz .LBB15_125
; %bb.124:
	ds_read_b32 v5, v12 offset:6400
	s_waitcnt lgkmcnt(0)
	v_lshrrev_b32_e32 v5, s68, v5
	v_and_b32_e32 v46, s33, v5
.LBB15_125:
	;; [unrolled: 20-line block ×6, first 2 shown]
	s_or_b64 exec, exec, s[0:1]
	s_waitcnt vmcnt(0)
	s_barrier
	ds_write_b32 v24, v13 offset:256
	ds_write_b32 v25, v14 offset:256
	;; [unrolled: 1-line block ×12, first 2 shown]
	s_waitcnt lgkmcnt(0)
	s_barrier
	s_and_saveexec_b64 s[0:1], s[26:27]
	s_cbranch_execz .LBB15_153
; %bb.142:
	v_lshlrev_b32_e32 v13, 3, v54
	ds_read_b64 v[13:14], v13
	ds_read_b32 v16, v12 offset:256
	v_mov_b32_e32 v17, s63
	s_waitcnt lgkmcnt(1)
	v_lshlrev_b64 v[13:14], 2, v[13:14]
	v_add_co_u32_e32 v13, vcc, s62, v13
	v_addc_co_u32_e32 v14, vcc, v17, v14, vcc
	v_add_co_u32_e32 v13, vcc, v13, v12
	v_addc_co_u32_e32 v14, vcc, 0, v14, vcc
	s_waitcnt lgkmcnt(0)
	global_store_dword v[13:14], v16, off
	s_or_b64 exec, exec, s[0:1]
	s_and_saveexec_b64 s[0:1], s[28:29]
	s_cbranch_execnz .LBB15_154
.LBB15_143:
	s_or_b64 exec, exec, s[0:1]
	s_and_saveexec_b64 s[0:1], s[30:31]
	s_cbranch_execz .LBB15_155
.LBB15_144:
	v_lshlrev_b32_e32 v13, 3, v51
	ds_read_b64 v[13:14], v13
	ds_read_b32 v16, v12 offset:4352
	v_mov_b32_e32 v17, s63
	s_waitcnt lgkmcnt(1)
	v_lshlrev_b64 v[13:14], 2, v[13:14]
	v_add_co_u32_e32 v13, vcc, s62, v13
	v_addc_co_u32_e32 v14, vcc, v17, v14, vcc
	v_add_co_u32_e32 v13, vcc, v13, v7
	v_addc_co_u32_e32 v14, vcc, 0, v14, vcc
	s_waitcnt lgkmcnt(0)
	global_store_dword v[13:14], v16, off
	s_or_b64 exec, exec, s[0:1]
	s_and_saveexec_b64 s[0:1], s[34:35]
	s_cbranch_execnz .LBB15_156
.LBB15_145:
	s_or_b64 exec, exec, s[0:1]
	s_and_saveexec_b64 s[0:1], s[36:37]
	s_cbranch_execz .LBB15_157
.LBB15_146:
	v_lshlrev_b32_e32 v7, 3, v48
	ds_read_b64 v[7:8], v7
	ds_read_b32 v13, v12 offset:8448
	v_mov_b32_e32 v14, s63
	s_waitcnt lgkmcnt(1)
	v_lshlrev_b64 v[7:8], 2, v[7:8]
	v_add_co_u32_e32 v7, vcc, s62, v7
	v_addc_co_u32_e32 v8, vcc, v14, v8, vcc
	v_add_co_u32_e32 v7, vcc, v7, v9
	v_addc_co_u32_e32 v8, vcc, 0, v8, vcc
	s_waitcnt lgkmcnt(0)
	global_store_dword v[7:8], v13, off
	s_or_b64 exec, exec, s[0:1]
	s_and_saveexec_b64 s[0:1], s[38:39]
	s_cbranch_execnz .LBB15_158
.LBB15_147:
	s_or_b64 exec, exec, s[0:1]
	s_and_saveexec_b64 s[0:1], s[40:41]
	s_cbranch_execz .LBB15_159
.LBB15_148:
	v_lshlrev_b32_e32 v7, 3, v44
	ds_read_b64 v[7:8], v7
	ds_read_b32 v9, v12 offset:12544
	v_mov_b32_e32 v10, s63
	s_waitcnt lgkmcnt(1)
	v_lshlrev_b64 v[7:8], 2, v[7:8]
	v_add_co_u32_e32 v7, vcc, s62, v7
	v_addc_co_u32_e32 v8, vcc, v10, v8, vcc
	v_add_co_u32_e32 v7, vcc, v7, v21
	v_addc_co_u32_e32 v8, vcc, 0, v8, vcc
	s_waitcnt lgkmcnt(0)
	global_store_dword v[7:8], v9, off
	s_or_b64 exec, exec, s[0:1]
	s_and_saveexec_b64 s[0:1], s[42:43]
	s_cbranch_execnz .LBB15_160
.LBB15_149:
	s_or_b64 exec, exec, s[0:1]
	s_and_saveexec_b64 s[0:1], s[44:45]
	s_cbranch_execz .LBB15_161
.LBB15_150:
	v_lshlrev_b32_e32 v7, 3, v41
	ds_read_b64 v[7:8], v7
	ds_read_b32 v9, v12 offset:16640
	v_mov_b32_e32 v10, s63
	s_waitcnt lgkmcnt(1)
	v_lshlrev_b64 v[7:8], 2, v[7:8]
	v_add_co_u32_e32 v7, vcc, s62, v7
	v_addc_co_u32_e32 v8, vcc, v10, v8, vcc
	v_add_co_u32_e32 v7, vcc, v7, v31
	v_addc_co_u32_e32 v8, vcc, 0, v8, vcc
	s_waitcnt lgkmcnt(0)
	global_store_dword v[7:8], v9, off
	s_or_b64 exec, exec, s[0:1]
	s_and_saveexec_b64 s[0:1], s[46:47]
	s_cbranch_execnz .LBB15_162
.LBB15_151:
	s_or_b64 exec, exec, s[0:1]
	s_and_saveexec_b64 s[0:1], s[48:49]
	s_cbranch_execz .LBB15_163
.LBB15_152:
	v_lshlrev_b32_e32 v6, 3, v37
	ds_read_b64 v[6:7], v6
	ds_read_b32 v8, v12 offset:20736
	v_mov_b32_e32 v9, s63
	s_waitcnt lgkmcnt(1)
	v_lshlrev_b64 v[6:7], 2, v[6:7]
	v_add_co_u32_e32 v6, vcc, s62, v6
	v_addc_co_u32_e32 v7, vcc, v9, v7, vcc
	v_add_co_u32_e32 v6, vcc, v6, v33
	v_addc_co_u32_e32 v7, vcc, 0, v7, vcc
	s_waitcnt lgkmcnt(0)
	global_store_dword v[6:7], v8, off
	s_or_b64 exec, exec, s[0:1]
	s_and_saveexec_b64 s[0:1], s[50:51]
	s_cbranch_execnz .LBB15_164
	s_branch .LBB15_165
.LBB15_153:
	s_or_b64 exec, exec, s[0:1]
	s_and_saveexec_b64 s[0:1], s[28:29]
	s_cbranch_execz .LBB15_143
.LBB15_154:
	v_lshlrev_b32_e32 v13, 3, v50
	ds_read_b64 v[13:14], v13
	ds_read_b32 v16, v12 offset:2304
	v_mov_b32_e32 v17, s63
	s_waitcnt lgkmcnt(1)
	v_lshlrev_b64 v[13:14], 2, v[13:14]
	v_add_co_u32_e32 v13, vcc, s62, v13
	v_addc_co_u32_e32 v14, vcc, v17, v14, vcc
	v_add_co_u32_e32 v13, vcc, v13, v12
	v_addc_co_u32_e32 v14, vcc, 0, v14, vcc
	s_waitcnt lgkmcnt(0)
	global_store_dword v[13:14], v16, off offset:2048
	s_or_b64 exec, exec, s[0:1]
	s_and_saveexec_b64 s[0:1], s[30:31]
	s_cbranch_execnz .LBB15_144
.LBB15_155:
	s_or_b64 exec, exec, s[0:1]
	s_and_saveexec_b64 s[0:1], s[34:35]
	s_cbranch_execz .LBB15_145
.LBB15_156:
	v_lshlrev_b32_e32 v7, 3, v46
	ds_read_b64 v[13:14], v7
	ds_read_b32 v16, v12 offset:6400
	v_mov_b32_e32 v7, s63
	s_waitcnt lgkmcnt(1)
	v_lshlrev_b64 v[13:14], 2, v[13:14]
	v_add_co_u32_e32 v13, vcc, s62, v13
	v_addc_co_u32_e32 v14, vcc, v7, v14, vcc
	v_add_co_u32_e32 v7, vcc, v13, v8
	v_addc_co_u32_e32 v8, vcc, 0, v14, vcc
	s_waitcnt lgkmcnt(0)
	global_store_dword v[7:8], v16, off
	s_or_b64 exec, exec, s[0:1]
	s_and_saveexec_b64 s[0:1], s[36:37]
	s_cbranch_execnz .LBB15_146
.LBB15_157:
	s_or_b64 exec, exec, s[0:1]
	s_and_saveexec_b64 s[0:1], s[38:39]
	s_cbranch_execz .LBB15_147
.LBB15_158:
	v_lshlrev_b32_e32 v7, 3, v43
	ds_read_b64 v[7:8], v7
	ds_read_b32 v9, v12 offset:10496
	v_mov_b32_e32 v13, s63
	s_waitcnt lgkmcnt(1)
	v_lshlrev_b64 v[7:8], 2, v[7:8]
	v_add_co_u32_e32 v7, vcc, s62, v7
	v_addc_co_u32_e32 v8, vcc, v13, v8, vcc
	v_add_co_u32_e32 v7, vcc, v7, v10
	v_addc_co_u32_e32 v8, vcc, 0, v8, vcc
	s_waitcnt lgkmcnt(0)
	global_store_dword v[7:8], v9, off
	s_or_b64 exec, exec, s[0:1]
	s_and_saveexec_b64 s[0:1], s[40:41]
	s_cbranch_execnz .LBB15_148
.LBB15_159:
	s_or_b64 exec, exec, s[0:1]
	s_and_saveexec_b64 s[0:1], s[42:43]
	s_cbranch_execz .LBB15_149
.LBB15_160:
	v_lshlrev_b32_e32 v7, 3, v39
	ds_read_b64 v[7:8], v7
	ds_read_b32 v9, v12 offset:14592
	v_mov_b32_e32 v10, s63
	s_waitcnt lgkmcnt(1)
	v_lshlrev_b64 v[7:8], 2, v[7:8]
	v_add_co_u32_e32 v7, vcc, s62, v7
	v_addc_co_u32_e32 v8, vcc, v10, v8, vcc
	v_add_co_u32_e32 v7, vcc, v7, v30
	v_addc_co_u32_e32 v8, vcc, 0, v8, vcc
	s_waitcnt lgkmcnt(0)
	global_store_dword v[7:8], v9, off
	s_or_b64 exec, exec, s[0:1]
	s_and_saveexec_b64 s[0:1], s[44:45]
	s_cbranch_execnz .LBB15_150
.LBB15_161:
	s_or_b64 exec, exec, s[0:1]
	s_and_saveexec_b64 s[0:1], s[46:47]
	s_cbranch_execz .LBB15_151
.LBB15_162:
	v_lshlrev_b32_e32 v6, 3, v6
	ds_read_b64 v[6:7], v6
	ds_read_b32 v8, v12 offset:18688
	v_mov_b32_e32 v9, s63
	s_waitcnt lgkmcnt(1)
	v_lshlrev_b64 v[6:7], 2, v[6:7]
	v_add_co_u32_e32 v6, vcc, s62, v6
	v_addc_co_u32_e32 v7, vcc, v9, v7, vcc
	v_add_co_u32_e32 v6, vcc, v6, v32
	v_addc_co_u32_e32 v7, vcc, 0, v7, vcc
	s_waitcnt lgkmcnt(0)
	global_store_dword v[6:7], v8, off
	s_or_b64 exec, exec, s[0:1]
	s_and_saveexec_b64 s[0:1], s[48:49]
	s_cbranch_execnz .LBB15_152
.LBB15_163:
	s_or_b64 exec, exec, s[0:1]
	s_and_saveexec_b64 s[0:1], s[50:51]
	s_cbranch_execz .LBB15_165
.LBB15_164:
	v_lshlrev_b32_e32 v5, 3, v5
	ds_read_b64 v[5:6], v5
	ds_read_b32 v7, v12 offset:22784
	v_mov_b32_e32 v8, s63
	s_waitcnt lgkmcnt(1)
	v_lshlrev_b64 v[5:6], 2, v[5:6]
	v_add_co_u32_e32 v5, vcc, s62, v5
	v_addc_co_u32_e32 v6, vcc, v8, v6, vcc
	v_add_co_u32_e32 v5, vcc, v5, v34
	v_addc_co_u32_e32 v6, vcc, 0, v6, vcc
	s_waitcnt lgkmcnt(0)
	global_store_dword v[5:6], v7, off
.LBB15_165:
	s_or_b64 exec, exec, s[0:1]
	s_add_i32 s7, s7, -1
	s_cmp_eq_u32 s6, s7
	s_cselect_b64 s[0:1], -1, 0
	s_xor_b64 s[2:3], s[24:25], -1
	s_and_b64 s[2:3], s[2:3], s[0:1]
	s_and_saveexec_b64 s[0:1], s[2:3]
	s_cbranch_execz .LBB15_167
; %bb.166:
	ds_read_b64 v[5:6], v15
	v_add_co_u32_e32 v3, vcc, v3, v23
	v_addc_co_u32_e32 v4, vcc, 0, v4, vcc
	s_waitcnt lgkmcnt(0)
	v_add_co_u32_e32 v3, vcc, v3, v5
	v_addc_co_u32_e32 v4, vcc, v4, v6, vcc
	global_store_dwordx2 v15, v[3:4], s[66:67]
.LBB15_167:
	s_or_b64 exec, exec, s[0:1]
	s_mov_b64 s[0:1], 0
.LBB15_168:
	s_and_b64 vcc, exec, s[0:1]
	s_cbranch_vccz .LBB15_215
; %bb.169:
	s_mov_b32 s75, 0
	s_lshl_b64 s[8:9], s[74:75], 2
	s_add_u32 s0, s56, s8
	v_mbcnt_hi_u32_b32 v5, -1, v11
	s_addc_u32 s1, s57, s9
	v_and_b32_e32 v7, 0x1c0, v0
	v_lshlrev_b32_e32 v10, 2, v5
	v_mul_u32_u24_e32 v4, 12, v7
	v_mov_b32_e32 v6, s1
	v_add_co_u32_e32 v8, vcc, s0, v10
	v_addc_co_u32_e32 v6, vcc, 0, v6, vcc
	v_lshlrev_b32_e32 v11, 2, v4
	v_add_co_u32_e32 v8, vcc, v8, v11
	v_addc_co_u32_e32 v9, vcc, 0, v6, vcc
	s_load_dword s7, s[4:5], 0x50
	s_load_dword s0, s[4:5], 0x5c
	global_load_dword v4, v[8:9], off
	s_add_u32 s1, s4, 0x50
	s_addc_u32 s2, s5, 0
	v_mov_b32_e32 v3, 0
	s_waitcnt lgkmcnt(0)
	s_lshr_b32 s3, s0, 16
	s_cmp_lt_u32 s6, s7
	s_cselect_b32 s0, 12, 18
	s_add_u32 s0, s1, s0
	s_addc_u32 s1, s2, 0
	global_load_ushort v13, v3, s[0:1]
	global_load_dword v12, v[8:9], off offset:256
	global_load_dword v15, v[8:9], off offset:512
	;; [unrolled: 1-line block ×11, first 2 shown]
	s_lshl_b32 s0, -1, s69
	v_mad_u32_u24 v1, v2, s3, v1
	s_not_b32 s14, s0
	v_lshlrev_b32_e32 v9, 2, v0
	ds_write_b32 v9, v3 offset:32
	s_waitcnt vmcnt(0) lgkmcnt(0)
	s_barrier
	; wave barrier
	v_xor_b32_e32 v6, 0x7fffffff, v4
	v_lshrrev_b32_e32 v2, s68, v6
	v_and_b32_e32 v8, s14, v2
	v_mad_u64_u32 v[1:2], s[0:1], v1, v13, v[0:1]
	v_and_b32_e32 v13, 1, v8
	v_add_co_u32_e32 v14, vcc, -1, v13
	v_lshlrev_b32_e32 v4, 30, v8
	v_addc_co_u32_e64 v16, s[0:1], 0, -1, vcc
	v_mul_lo_u32 v2, v8, 36
	v_cmp_ne_u32_e32 vcc, 0, v13
	v_cmp_gt_i64_e64 s[0:1], 0, v[3:4]
	v_not_b32_e32 v13, v4
	v_lshlrev_b32_e32 v4, 29, v8
	v_xor_b32_e32 v16, vcc_hi, v16
	v_xor_b32_e32 v14, vcc_lo, v14
	v_ashrrev_i32_e32 v13, 31, v13
	v_cmp_gt_i64_e32 vcc, 0, v[3:4]
	v_not_b32_e32 v17, v4
	v_lshlrev_b32_e32 v4, 28, v8
	v_and_b32_e32 v16, exec_hi, v16
	v_and_b32_e32 v14, exec_lo, v14
	v_xor_b32_e32 v19, s1, v13
	v_xor_b32_e32 v13, s0, v13
	v_ashrrev_i32_e32 v17, 31, v17
	v_cmp_gt_i64_e64 s[0:1], 0, v[3:4]
	v_not_b32_e32 v21, v4
	v_lshlrev_b32_e32 v4, 27, v8
	v_lshrrev_b32_e32 v23, 6, v1
	v_and_b32_e32 v1, v16, v19
	v_and_b32_e32 v8, v14, v13
	v_xor_b32_e32 v13, vcc_hi, v17
	v_xor_b32_e32 v16, vcc_lo, v17
	v_ashrrev_i32_e32 v17, 31, v21
	v_cmp_gt_i64_e32 vcc, 0, v[3:4]
	v_not_b32_e32 v4, v4
	v_lshl_add_u32 v14, v23, 2, v2
	v_and_b32_e32 v1, v1, v13
	v_and_b32_e32 v2, v8, v16
	v_xor_b32_e32 v8, s1, v17
	v_xor_b32_e32 v13, s0, v17
	v_ashrrev_i32_e32 v4, 31, v4
	v_and_b32_e32 v1, v1, v8
	v_and_b32_e32 v8, v2, v13
	v_xor_b32_e32 v2, vcc_hi, v4
	v_xor_b32_e32 v4, vcc_lo, v4
	v_and_b32_e32 v2, v1, v2
	v_and_b32_e32 v1, v8, v4
	v_mbcnt_lo_u32_b32 v4, v1, 0
	v_mbcnt_hi_u32_b32 v8, v2, v4
	v_cmp_ne_u64_e32 vcc, 0, v[1:2]
	v_cmp_eq_u32_e64 s[0:1], 0, v8
	s_and_b64 s[2:3], vcc, s[0:1]
	s_and_saveexec_b64 s[0:1], s[2:3]
; %bb.170:
	v_bcnt_u32_b32 v1, v1, 0
	v_bcnt_u32_b32 v1, v2, v1
	ds_write_b32 v14, v1 offset:32
; %bb.171:
	s_or_b64 exec, exec, s[0:1]
	v_xor_b32_e32 v12, 0x7fffffff, v12
	v_lshrrev_b32_e32 v1, s68, v12
	v_and_b32_e32 v1, s14, v1
	v_mul_lo_u32 v2, v1, 36
	v_and_b32_e32 v4, 1, v1
	; wave barrier
	v_lshl_add_u32 v16, v23, 2, v2
	v_add_co_u32_e32 v2, vcc, -1, v4
	v_addc_co_u32_e64 v17, s[0:1], 0, -1, vcc
	v_cmp_ne_u32_e32 vcc, 0, v4
	v_xor_b32_e32 v4, vcc_hi, v17
	v_and_b32_e32 v17, exec_hi, v4
	v_lshlrev_b32_e32 v4, 30, v1
	v_xor_b32_e32 v2, vcc_lo, v2
	v_cmp_gt_i64_e32 vcc, 0, v[3:4]
	v_not_b32_e32 v4, v4
	v_ashrrev_i32_e32 v4, 31, v4
	v_and_b32_e32 v2, exec_lo, v2
	v_xor_b32_e32 v19, vcc_hi, v4
	v_xor_b32_e32 v4, vcc_lo, v4
	v_and_b32_e32 v2, v2, v4
	v_lshlrev_b32_e32 v4, 29, v1
	v_cmp_gt_i64_e32 vcc, 0, v[3:4]
	v_not_b32_e32 v4, v4
	v_ashrrev_i32_e32 v4, 31, v4
	v_and_b32_e32 v17, v17, v19
	v_xor_b32_e32 v19, vcc_hi, v4
	v_xor_b32_e32 v4, vcc_lo, v4
	v_and_b32_e32 v2, v2, v4
	v_lshlrev_b32_e32 v4, 28, v1
	v_cmp_gt_i64_e32 vcc, 0, v[3:4]
	v_not_b32_e32 v4, v4
	v_ashrrev_i32_e32 v4, 31, v4
	v_and_b32_e32 v17, v17, v19
	v_xor_b32_e32 v19, vcc_hi, v4
	v_xor_b32_e32 v4, vcc_lo, v4
	v_and_b32_e32 v17, v17, v19
	v_and_b32_e32 v19, v2, v4
	v_lshlrev_b32_e32 v4, 27, v1
	v_cmp_gt_i64_e32 vcc, 0, v[3:4]
	v_not_b32_e32 v1, v4
	v_ashrrev_i32_e32 v1, 31, v1
	v_xor_b32_e32 v2, vcc_hi, v1
	v_xor_b32_e32 v1, vcc_lo, v1
	ds_read_b32 v13, v16 offset:32
	v_and_b32_e32 v1, v19, v1
	v_and_b32_e32 v2, v17, v2
	v_mbcnt_lo_u32_b32 v3, v1, 0
	v_mbcnt_hi_u32_b32 v4, v2, v3
	v_cmp_ne_u64_e32 vcc, 0, v[1:2]
	v_cmp_eq_u32_e64 s[0:1], 0, v4
	s_and_b64 s[2:3], vcc, s[0:1]
	; wave barrier
	s_and_saveexec_b64 s[0:1], s[2:3]
	s_cbranch_execz .LBB15_173
; %bb.172:
	v_bcnt_u32_b32 v1, v1, 0
	v_bcnt_u32_b32 v1, v2, v1
	s_waitcnt lgkmcnt(0)
	v_add_u32_e32 v1, v13, v1
	ds_write_b32 v16, v1 offset:32
.LBB15_173:
	s_or_b64 exec, exec, s[0:1]
	v_xor_b32_e32 v15, 0x7fffffff, v15
	v_lshrrev_b32_e32 v1, s68, v15
	v_and_b32_e32 v3, s14, v1
	v_mul_lo_u32 v1, v3, 36
	v_and_b32_e32 v2, 1, v3
	v_add_co_u32_e32 v19, vcc, -1, v2
	v_addc_co_u32_e64 v22, s[0:1], 0, -1, vcc
	v_cmp_ne_u32_e32 vcc, 0, v2
	v_xor_b32_e32 v2, vcc_hi, v22
	v_lshl_add_u32 v21, v23, 2, v1
	v_mov_b32_e32 v1, 0
	v_and_b32_e32 v22, exec_hi, v2
	v_lshlrev_b32_e32 v2, 30, v3
	v_xor_b32_e32 v19, vcc_lo, v19
	v_cmp_gt_i64_e32 vcc, 0, v[1:2]
	v_not_b32_e32 v2, v2
	v_ashrrev_i32_e32 v2, 31, v2
	v_and_b32_e32 v19, exec_lo, v19
	v_xor_b32_e32 v25, vcc_hi, v2
	v_xor_b32_e32 v2, vcc_lo, v2
	v_and_b32_e32 v19, v19, v2
	v_lshlrev_b32_e32 v2, 29, v3
	v_cmp_gt_i64_e32 vcc, 0, v[1:2]
	v_not_b32_e32 v2, v2
	v_ashrrev_i32_e32 v2, 31, v2
	v_and_b32_e32 v22, v22, v25
	v_xor_b32_e32 v25, vcc_hi, v2
	v_xor_b32_e32 v2, vcc_lo, v2
	v_and_b32_e32 v19, v19, v2
	v_lshlrev_b32_e32 v2, 28, v3
	v_cmp_gt_i64_e32 vcc, 0, v[1:2]
	v_not_b32_e32 v2, v2
	v_ashrrev_i32_e32 v2, 31, v2
	v_and_b32_e32 v22, v22, v25
	v_xor_b32_e32 v25, vcc_hi, v2
	v_xor_b32_e32 v2, vcc_lo, v2
	v_and_b32_e32 v19, v19, v2
	v_lshlrev_b32_e32 v2, 27, v3
	v_cmp_gt_i64_e32 vcc, 0, v[1:2]
	v_not_b32_e32 v2, v2
	v_ashrrev_i32_e32 v2, 31, v2
	v_xor_b32_e32 v3, vcc_hi, v2
	v_xor_b32_e32 v2, vcc_lo, v2
	; wave barrier
	ds_read_b32 v17, v21 offset:32
	v_and_b32_e32 v22, v22, v25
	v_and_b32_e32 v2, v19, v2
	;; [unrolled: 1-line block ×3, first 2 shown]
	v_mbcnt_lo_u32_b32 v19, v2, 0
	v_mbcnt_hi_u32_b32 v19, v3, v19
	v_cmp_ne_u64_e32 vcc, 0, v[2:3]
	v_cmp_eq_u32_e64 s[0:1], 0, v19
	s_and_b64 s[2:3], vcc, s[0:1]
	; wave barrier
	s_and_saveexec_b64 s[0:1], s[2:3]
	s_cbranch_execz .LBB15_175
; %bb.174:
	v_bcnt_u32_b32 v2, v2, 0
	v_bcnt_u32_b32 v2, v3, v2
	s_waitcnt lgkmcnt(0)
	v_add_u32_e32 v2, v17, v2
	ds_write_b32 v21, v2 offset:32
.LBB15_175:
	s_or_b64 exec, exec, s[0:1]
	v_xor_b32_e32 v20, 0x7fffffff, v20
	v_lshrrev_b32_e32 v2, s68, v20
	v_and_b32_e32 v3, s14, v2
	v_mul_lo_u32 v2, v3, 36
	v_and_b32_e32 v25, 1, v3
	; wave barrier
	v_lshl_add_u32 v27, v23, 2, v2
	v_add_co_u32_e32 v2, vcc, -1, v25
	v_addc_co_u32_e64 v28, s[0:1], 0, -1, vcc
	v_cmp_ne_u32_e32 vcc, 0, v25
	v_xor_b32_e32 v2, vcc_lo, v2
	v_xor_b32_e32 v25, vcc_hi, v28
	v_and_b32_e32 v28, exec_lo, v2
	v_lshlrev_b32_e32 v2, 30, v3
	v_cmp_gt_i64_e32 vcc, 0, v[1:2]
	v_not_b32_e32 v2, v2
	v_ashrrev_i32_e32 v2, 31, v2
	v_xor_b32_e32 v30, vcc_hi, v2
	v_xor_b32_e32 v2, vcc_lo, v2
	v_and_b32_e32 v28, v28, v2
	v_lshlrev_b32_e32 v2, 29, v3
	v_cmp_gt_i64_e32 vcc, 0, v[1:2]
	v_not_b32_e32 v2, v2
	v_and_b32_e32 v25, exec_hi, v25
	v_ashrrev_i32_e32 v2, 31, v2
	v_and_b32_e32 v25, v25, v30
	v_xor_b32_e32 v30, vcc_hi, v2
	v_xor_b32_e32 v2, vcc_lo, v2
	v_and_b32_e32 v28, v28, v2
	v_lshlrev_b32_e32 v2, 28, v3
	v_cmp_gt_i64_e32 vcc, 0, v[1:2]
	v_not_b32_e32 v2, v2
	v_ashrrev_i32_e32 v2, 31, v2
	v_and_b32_e32 v25, v25, v30
	v_xor_b32_e32 v30, vcc_hi, v2
	v_xor_b32_e32 v2, vcc_lo, v2
	v_and_b32_e32 v28, v28, v2
	v_lshlrev_b32_e32 v2, 27, v3
	v_cmp_gt_i64_e32 vcc, 0, v[1:2]
	v_not_b32_e32 v1, v2
	v_ashrrev_i32_e32 v1, 31, v1
	v_xor_b32_e32 v2, vcc_hi, v1
	v_xor_b32_e32 v1, vcc_lo, v1
	ds_read_b32 v22, v27 offset:32
	v_and_b32_e32 v25, v25, v30
	v_and_b32_e32 v1, v28, v1
	v_and_b32_e32 v2, v25, v2
	v_mbcnt_lo_u32_b32 v3, v1, 0
	v_mbcnt_hi_u32_b32 v25, v2, v3
	v_cmp_ne_u64_e32 vcc, 0, v[1:2]
	v_cmp_eq_u32_e64 s[0:1], 0, v25
	s_and_b64 s[2:3], vcc, s[0:1]
	; wave barrier
	s_and_saveexec_b64 s[0:1], s[2:3]
	s_cbranch_execz .LBB15_177
; %bb.176:
	v_bcnt_u32_b32 v1, v1, 0
	v_bcnt_u32_b32 v1, v2, v1
	s_waitcnt lgkmcnt(0)
	v_add_u32_e32 v1, v22, v1
	ds_write_b32 v27, v1 offset:32
.LBB15_177:
	s_or_b64 exec, exec, s[0:1]
	v_xor_b32_e32 v26, 0x7fffffff, v26
	v_lshrrev_b32_e32 v1, s68, v26
	v_and_b32_e32 v3, s14, v1
	v_mul_lo_u32 v1, v3, 36
	v_and_b32_e32 v2, 1, v3
	v_add_co_u32_e32 v30, vcc, -1, v2
	v_addc_co_u32_e64 v33, s[0:1], 0, -1, vcc
	v_cmp_ne_u32_e32 vcc, 0, v2
	v_xor_b32_e32 v2, vcc_hi, v33
	v_lshl_add_u32 v32, v23, 2, v1
	v_mov_b32_e32 v1, 0
	v_and_b32_e32 v33, exec_hi, v2
	v_lshlrev_b32_e32 v2, 30, v3
	v_xor_b32_e32 v30, vcc_lo, v30
	v_cmp_gt_i64_e32 vcc, 0, v[1:2]
	v_not_b32_e32 v2, v2
	v_ashrrev_i32_e32 v2, 31, v2
	v_and_b32_e32 v30, exec_lo, v30
	v_xor_b32_e32 v35, vcc_hi, v2
	v_xor_b32_e32 v2, vcc_lo, v2
	v_and_b32_e32 v30, v30, v2
	v_lshlrev_b32_e32 v2, 29, v3
	v_cmp_gt_i64_e32 vcc, 0, v[1:2]
	v_not_b32_e32 v2, v2
	v_ashrrev_i32_e32 v2, 31, v2
	v_and_b32_e32 v33, v33, v35
	v_xor_b32_e32 v35, vcc_hi, v2
	v_xor_b32_e32 v2, vcc_lo, v2
	v_and_b32_e32 v30, v30, v2
	v_lshlrev_b32_e32 v2, 28, v3
	v_cmp_gt_i64_e32 vcc, 0, v[1:2]
	v_not_b32_e32 v2, v2
	v_ashrrev_i32_e32 v2, 31, v2
	v_and_b32_e32 v33, v33, v35
	v_xor_b32_e32 v35, vcc_hi, v2
	v_xor_b32_e32 v2, vcc_lo, v2
	v_and_b32_e32 v30, v30, v2
	v_lshlrev_b32_e32 v2, 27, v3
	v_cmp_gt_i64_e32 vcc, 0, v[1:2]
	v_not_b32_e32 v2, v2
	v_ashrrev_i32_e32 v2, 31, v2
	v_xor_b32_e32 v3, vcc_hi, v2
	v_xor_b32_e32 v2, vcc_lo, v2
	; wave barrier
	ds_read_b32 v28, v32 offset:32
	v_and_b32_e32 v33, v33, v35
	v_and_b32_e32 v2, v30, v2
	;; [unrolled: 1-line block ×3, first 2 shown]
	v_mbcnt_lo_u32_b32 v30, v2, 0
	v_mbcnt_hi_u32_b32 v30, v3, v30
	v_cmp_ne_u64_e32 vcc, 0, v[2:3]
	v_cmp_eq_u32_e64 s[0:1], 0, v30
	s_and_b64 s[2:3], vcc, s[0:1]
	; wave barrier
	s_and_saveexec_b64 s[0:1], s[2:3]
	s_cbranch_execz .LBB15_179
; %bb.178:
	v_bcnt_u32_b32 v2, v2, 0
	v_bcnt_u32_b32 v2, v3, v2
	s_waitcnt lgkmcnt(0)
	v_add_u32_e32 v2, v28, v2
	ds_write_b32 v32, v2 offset:32
.LBB15_179:
	s_or_b64 exec, exec, s[0:1]
	v_xor_b32_e32 v31, 0x7fffffff, v31
	v_lshrrev_b32_e32 v2, s68, v31
	v_and_b32_e32 v3, s14, v2
	v_mul_lo_u32 v2, v3, 36
	v_and_b32_e32 v35, 1, v3
	; wave barrier
	v_lshl_add_u32 v37, v23, 2, v2
	v_add_co_u32_e32 v2, vcc, -1, v35
	v_addc_co_u32_e64 v38, s[0:1], 0, -1, vcc
	v_cmp_ne_u32_e32 vcc, 0, v35
	v_xor_b32_e32 v2, vcc_lo, v2
	v_xor_b32_e32 v35, vcc_hi, v38
	v_and_b32_e32 v38, exec_lo, v2
	v_lshlrev_b32_e32 v2, 30, v3
	v_cmp_gt_i64_e32 vcc, 0, v[1:2]
	v_not_b32_e32 v2, v2
	v_ashrrev_i32_e32 v2, 31, v2
	v_xor_b32_e32 v39, vcc_hi, v2
	v_xor_b32_e32 v2, vcc_lo, v2
	v_and_b32_e32 v38, v38, v2
	v_lshlrev_b32_e32 v2, 29, v3
	v_cmp_gt_i64_e32 vcc, 0, v[1:2]
	v_not_b32_e32 v2, v2
	v_and_b32_e32 v35, exec_hi, v35
	v_ashrrev_i32_e32 v2, 31, v2
	v_and_b32_e32 v35, v35, v39
	v_xor_b32_e32 v39, vcc_hi, v2
	v_xor_b32_e32 v2, vcc_lo, v2
	v_and_b32_e32 v38, v38, v2
	v_lshlrev_b32_e32 v2, 28, v3
	v_cmp_gt_i64_e32 vcc, 0, v[1:2]
	v_not_b32_e32 v2, v2
	v_ashrrev_i32_e32 v2, 31, v2
	v_and_b32_e32 v35, v35, v39
	v_xor_b32_e32 v39, vcc_hi, v2
	v_xor_b32_e32 v2, vcc_lo, v2
	v_and_b32_e32 v38, v38, v2
	v_lshlrev_b32_e32 v2, 27, v3
	v_cmp_gt_i64_e32 vcc, 0, v[1:2]
	v_not_b32_e32 v1, v2
	v_ashrrev_i32_e32 v1, 31, v1
	v_xor_b32_e32 v2, vcc_hi, v1
	v_xor_b32_e32 v1, vcc_lo, v1
	ds_read_b32 v33, v37 offset:32
	v_and_b32_e32 v35, v35, v39
	v_and_b32_e32 v1, v38, v1
	;; [unrolled: 1-line block ×3, first 2 shown]
	v_mbcnt_lo_u32_b32 v3, v1, 0
	v_mbcnt_hi_u32_b32 v35, v2, v3
	v_cmp_ne_u64_e32 vcc, 0, v[1:2]
	v_cmp_eq_u32_e64 s[0:1], 0, v35
	s_and_b64 s[2:3], vcc, s[0:1]
	; wave barrier
	s_and_saveexec_b64 s[0:1], s[2:3]
	s_cbranch_execz .LBB15_181
; %bb.180:
	v_bcnt_u32_b32 v1, v1, 0
	v_bcnt_u32_b32 v1, v2, v1
	s_waitcnt lgkmcnt(0)
	v_add_u32_e32 v1, v33, v1
	ds_write_b32 v37, v1 offset:32
.LBB15_181:
	s_or_b64 exec, exec, s[0:1]
	v_xor_b32_e32 v36, 0x7fffffff, v36
	v_lshrrev_b32_e32 v1, s68, v36
	v_and_b32_e32 v3, s14, v1
	v_mul_lo_u32 v1, v3, 36
	v_and_b32_e32 v2, 1, v3
	v_add_co_u32_e32 v39, vcc, -1, v2
	v_addc_co_u32_e64 v41, s[0:1], 0, -1, vcc
	v_cmp_ne_u32_e32 vcc, 0, v2
	v_xor_b32_e32 v2, vcc_hi, v41
	v_lshl_add_u32 v42, v23, 2, v1
	v_mov_b32_e32 v1, 0
	v_and_b32_e32 v41, exec_hi, v2
	v_lshlrev_b32_e32 v2, 30, v3
	v_xor_b32_e32 v39, vcc_lo, v39
	v_cmp_gt_i64_e32 vcc, 0, v[1:2]
	v_not_b32_e32 v2, v2
	v_ashrrev_i32_e32 v2, 31, v2
	v_and_b32_e32 v39, exec_lo, v39
	v_xor_b32_e32 v43, vcc_hi, v2
	v_xor_b32_e32 v2, vcc_lo, v2
	v_and_b32_e32 v39, v39, v2
	v_lshlrev_b32_e32 v2, 29, v3
	v_cmp_gt_i64_e32 vcc, 0, v[1:2]
	v_not_b32_e32 v2, v2
	v_ashrrev_i32_e32 v2, 31, v2
	v_and_b32_e32 v41, v41, v43
	v_xor_b32_e32 v43, vcc_hi, v2
	v_xor_b32_e32 v2, vcc_lo, v2
	v_and_b32_e32 v39, v39, v2
	v_lshlrev_b32_e32 v2, 28, v3
	v_cmp_gt_i64_e32 vcc, 0, v[1:2]
	v_not_b32_e32 v2, v2
	v_ashrrev_i32_e32 v2, 31, v2
	v_and_b32_e32 v41, v41, v43
	v_xor_b32_e32 v43, vcc_hi, v2
	v_xor_b32_e32 v2, vcc_lo, v2
	v_and_b32_e32 v39, v39, v2
	v_lshlrev_b32_e32 v2, 27, v3
	v_cmp_gt_i64_e32 vcc, 0, v[1:2]
	v_not_b32_e32 v2, v2
	v_ashrrev_i32_e32 v2, 31, v2
	v_xor_b32_e32 v3, vcc_hi, v2
	v_xor_b32_e32 v2, vcc_lo, v2
	; wave barrier
	ds_read_b32 v38, v42 offset:32
	v_and_b32_e32 v41, v41, v43
	v_and_b32_e32 v2, v39, v2
	;; [unrolled: 1-line block ×3, first 2 shown]
	v_mbcnt_lo_u32_b32 v39, v2, 0
	v_mbcnt_hi_u32_b32 v39, v3, v39
	v_cmp_ne_u64_e32 vcc, 0, v[2:3]
	v_cmp_eq_u32_e64 s[0:1], 0, v39
	s_and_b64 s[2:3], vcc, s[0:1]
	; wave barrier
	s_and_saveexec_b64 s[0:1], s[2:3]
	s_cbranch_execz .LBB15_183
; %bb.182:
	v_bcnt_u32_b32 v2, v2, 0
	v_bcnt_u32_b32 v2, v3, v2
	s_waitcnt lgkmcnt(0)
	v_add_u32_e32 v2, v38, v2
	ds_write_b32 v42, v2 offset:32
.LBB15_183:
	s_or_b64 exec, exec, s[0:1]
	v_xor_b32_e32 v40, 0x7fffffff, v40
	v_lshrrev_b32_e32 v2, s68, v40
	v_and_b32_e32 v3, s14, v2
	v_mul_lo_u32 v2, v3, 36
	v_and_b32_e32 v43, 1, v3
	; wave barrier
	v_lshl_add_u32 v45, v23, 2, v2
	v_add_co_u32_e32 v2, vcc, -1, v43
	v_addc_co_u32_e64 v44, s[0:1], 0, -1, vcc
	v_cmp_ne_u32_e32 vcc, 0, v43
	v_xor_b32_e32 v2, vcc_lo, v2
	v_xor_b32_e32 v43, vcc_hi, v44
	v_and_b32_e32 v44, exec_lo, v2
	v_lshlrev_b32_e32 v2, 30, v3
	v_cmp_gt_i64_e32 vcc, 0, v[1:2]
	v_not_b32_e32 v2, v2
	v_ashrrev_i32_e32 v2, 31, v2
	v_xor_b32_e32 v46, vcc_hi, v2
	v_xor_b32_e32 v2, vcc_lo, v2
	v_and_b32_e32 v44, v44, v2
	v_lshlrev_b32_e32 v2, 29, v3
	v_cmp_gt_i64_e32 vcc, 0, v[1:2]
	v_not_b32_e32 v2, v2
	v_and_b32_e32 v43, exec_hi, v43
	v_ashrrev_i32_e32 v2, 31, v2
	v_and_b32_e32 v43, v43, v46
	v_xor_b32_e32 v46, vcc_hi, v2
	v_xor_b32_e32 v2, vcc_lo, v2
	v_and_b32_e32 v44, v44, v2
	v_lshlrev_b32_e32 v2, 28, v3
	v_cmp_gt_i64_e32 vcc, 0, v[1:2]
	v_not_b32_e32 v2, v2
	v_ashrrev_i32_e32 v2, 31, v2
	v_and_b32_e32 v43, v43, v46
	v_xor_b32_e32 v46, vcc_hi, v2
	v_xor_b32_e32 v2, vcc_lo, v2
	v_and_b32_e32 v44, v44, v2
	v_lshlrev_b32_e32 v2, 27, v3
	v_cmp_gt_i64_e32 vcc, 0, v[1:2]
	v_not_b32_e32 v1, v2
	v_ashrrev_i32_e32 v1, 31, v1
	v_xor_b32_e32 v2, vcc_hi, v1
	v_xor_b32_e32 v1, vcc_lo, v1
	ds_read_b32 v41, v45 offset:32
	v_and_b32_e32 v43, v43, v46
	v_and_b32_e32 v1, v44, v1
	;; [unrolled: 1-line block ×3, first 2 shown]
	v_mbcnt_lo_u32_b32 v3, v1, 0
	v_mbcnt_hi_u32_b32 v43, v2, v3
	v_cmp_ne_u64_e32 vcc, 0, v[1:2]
	v_cmp_eq_u32_e64 s[0:1], 0, v43
	s_and_b64 s[2:3], vcc, s[0:1]
	; wave barrier
	s_and_saveexec_b64 s[0:1], s[2:3]
	s_cbranch_execz .LBB15_185
; %bb.184:
	v_bcnt_u32_b32 v1, v1, 0
	v_bcnt_u32_b32 v1, v2, v1
	s_waitcnt lgkmcnt(0)
	v_add_u32_e32 v1, v41, v1
	ds_write_b32 v45, v1 offset:32
.LBB15_185:
	s_or_b64 exec, exec, s[0:1]
	v_xor_b32_e32 v34, 0x7fffffff, v34
	v_lshrrev_b32_e32 v1, s68, v34
	v_and_b32_e32 v3, s14, v1
	v_mul_lo_u32 v1, v3, 36
	v_and_b32_e32 v2, 1, v3
	v_add_co_u32_e32 v46, vcc, -1, v2
	v_addc_co_u32_e64 v47, s[0:1], 0, -1, vcc
	v_cmp_ne_u32_e32 vcc, 0, v2
	v_xor_b32_e32 v2, vcc_hi, v47
	v_lshl_add_u32 v48, v23, 2, v1
	v_mov_b32_e32 v1, 0
	v_and_b32_e32 v47, exec_hi, v2
	v_lshlrev_b32_e32 v2, 30, v3
	v_xor_b32_e32 v46, vcc_lo, v46
	v_cmp_gt_i64_e32 vcc, 0, v[1:2]
	v_not_b32_e32 v2, v2
	v_ashrrev_i32_e32 v2, 31, v2
	v_and_b32_e32 v46, exec_lo, v46
	v_xor_b32_e32 v49, vcc_hi, v2
	v_xor_b32_e32 v2, vcc_lo, v2
	v_and_b32_e32 v46, v46, v2
	v_lshlrev_b32_e32 v2, 29, v3
	v_cmp_gt_i64_e32 vcc, 0, v[1:2]
	v_not_b32_e32 v2, v2
	v_ashrrev_i32_e32 v2, 31, v2
	v_and_b32_e32 v47, v47, v49
	v_xor_b32_e32 v49, vcc_hi, v2
	v_xor_b32_e32 v2, vcc_lo, v2
	v_and_b32_e32 v46, v46, v2
	v_lshlrev_b32_e32 v2, 28, v3
	v_cmp_gt_i64_e32 vcc, 0, v[1:2]
	v_not_b32_e32 v2, v2
	v_ashrrev_i32_e32 v2, 31, v2
	v_and_b32_e32 v47, v47, v49
	v_xor_b32_e32 v49, vcc_hi, v2
	v_xor_b32_e32 v2, vcc_lo, v2
	v_and_b32_e32 v46, v46, v2
	v_lshlrev_b32_e32 v2, 27, v3
	v_cmp_gt_i64_e32 vcc, 0, v[1:2]
	v_not_b32_e32 v2, v2
	v_ashrrev_i32_e32 v2, 31, v2
	v_xor_b32_e32 v3, vcc_hi, v2
	v_xor_b32_e32 v2, vcc_lo, v2
	; wave barrier
	ds_read_b32 v44, v48 offset:32
	v_and_b32_e32 v47, v47, v49
	v_and_b32_e32 v2, v46, v2
	v_and_b32_e32 v3, v47, v3
	v_mbcnt_lo_u32_b32 v46, v2, 0
	v_mbcnt_hi_u32_b32 v46, v3, v46
	v_cmp_ne_u64_e32 vcc, 0, v[2:3]
	v_cmp_eq_u32_e64 s[0:1], 0, v46
	s_and_b64 s[2:3], vcc, s[0:1]
	; wave barrier
	s_and_saveexec_b64 s[0:1], s[2:3]
	s_cbranch_execz .LBB15_187
; %bb.186:
	v_bcnt_u32_b32 v2, v2, 0
	v_bcnt_u32_b32 v2, v3, v2
	s_waitcnt lgkmcnt(0)
	v_add_u32_e32 v2, v44, v2
	ds_write_b32 v48, v2 offset:32
.LBB15_187:
	s_or_b64 exec, exec, s[0:1]
	v_xor_b32_e32 v29, 0x7fffffff, v29
	v_lshrrev_b32_e32 v2, s68, v29
	v_and_b32_e32 v3, s14, v2
	v_mul_lo_u32 v2, v3, 36
	v_and_b32_e32 v49, 1, v3
	; wave barrier
	v_lshl_add_u32 v51, v23, 2, v2
	v_add_co_u32_e32 v2, vcc, -1, v49
	v_addc_co_u32_e64 v50, s[0:1], 0, -1, vcc
	v_cmp_ne_u32_e32 vcc, 0, v49
	v_xor_b32_e32 v2, vcc_lo, v2
	v_xor_b32_e32 v49, vcc_hi, v50
	v_and_b32_e32 v50, exec_lo, v2
	v_lshlrev_b32_e32 v2, 30, v3
	v_cmp_gt_i64_e32 vcc, 0, v[1:2]
	v_not_b32_e32 v2, v2
	v_ashrrev_i32_e32 v2, 31, v2
	v_xor_b32_e32 v52, vcc_hi, v2
	v_xor_b32_e32 v2, vcc_lo, v2
	v_and_b32_e32 v50, v50, v2
	v_lshlrev_b32_e32 v2, 29, v3
	v_cmp_gt_i64_e32 vcc, 0, v[1:2]
	v_not_b32_e32 v2, v2
	v_and_b32_e32 v49, exec_hi, v49
	v_ashrrev_i32_e32 v2, 31, v2
	v_and_b32_e32 v49, v49, v52
	v_xor_b32_e32 v52, vcc_hi, v2
	v_xor_b32_e32 v2, vcc_lo, v2
	v_and_b32_e32 v50, v50, v2
	v_lshlrev_b32_e32 v2, 28, v3
	v_cmp_gt_i64_e32 vcc, 0, v[1:2]
	v_not_b32_e32 v2, v2
	v_ashrrev_i32_e32 v2, 31, v2
	v_and_b32_e32 v49, v49, v52
	v_xor_b32_e32 v52, vcc_hi, v2
	v_xor_b32_e32 v2, vcc_lo, v2
	v_and_b32_e32 v50, v50, v2
	v_lshlrev_b32_e32 v2, 27, v3
	v_cmp_gt_i64_e32 vcc, 0, v[1:2]
	v_not_b32_e32 v1, v2
	v_ashrrev_i32_e32 v1, 31, v1
	v_xor_b32_e32 v2, vcc_hi, v1
	v_xor_b32_e32 v1, vcc_lo, v1
	ds_read_b32 v47, v51 offset:32
	v_and_b32_e32 v49, v49, v52
	v_and_b32_e32 v1, v50, v1
	;; [unrolled: 1-line block ×3, first 2 shown]
	v_mbcnt_lo_u32_b32 v3, v1, 0
	v_mbcnt_hi_u32_b32 v49, v2, v3
	v_cmp_ne_u64_e32 vcc, 0, v[1:2]
	v_cmp_eq_u32_e64 s[0:1], 0, v49
	s_and_b64 s[2:3], vcc, s[0:1]
	; wave barrier
	s_and_saveexec_b64 s[0:1], s[2:3]
	s_cbranch_execz .LBB15_189
; %bb.188:
	v_bcnt_u32_b32 v1, v1, 0
	v_bcnt_u32_b32 v1, v2, v1
	s_waitcnt lgkmcnt(0)
	v_add_u32_e32 v1, v47, v1
	ds_write_b32 v51, v1 offset:32
.LBB15_189:
	s_or_b64 exec, exec, s[0:1]
	v_xor_b32_e32 v50, 0x7fffffff, v24
	v_lshrrev_b32_e32 v1, s68, v50
	v_and_b32_e32 v3, s14, v1
	v_mul_lo_u32 v1, v3, 36
	v_and_b32_e32 v2, 1, v3
	v_add_co_u32_e32 v52, vcc, -1, v2
	v_addc_co_u32_e64 v53, s[0:1], 0, -1, vcc
	v_cmp_ne_u32_e32 vcc, 0, v2
	v_xor_b32_e32 v2, vcc_hi, v53
	v_lshl_add_u32 v54, v23, 2, v1
	v_mov_b32_e32 v1, 0
	v_and_b32_e32 v53, exec_hi, v2
	v_lshlrev_b32_e32 v2, 30, v3
	v_xor_b32_e32 v52, vcc_lo, v52
	v_cmp_gt_i64_e32 vcc, 0, v[1:2]
	v_not_b32_e32 v2, v2
	v_ashrrev_i32_e32 v2, 31, v2
	v_and_b32_e32 v52, exec_lo, v52
	v_xor_b32_e32 v55, vcc_hi, v2
	v_xor_b32_e32 v2, vcc_lo, v2
	v_and_b32_e32 v52, v52, v2
	v_lshlrev_b32_e32 v2, 29, v3
	v_cmp_gt_i64_e32 vcc, 0, v[1:2]
	v_not_b32_e32 v2, v2
	v_ashrrev_i32_e32 v2, 31, v2
	v_and_b32_e32 v53, v53, v55
	v_xor_b32_e32 v55, vcc_hi, v2
	v_xor_b32_e32 v2, vcc_lo, v2
	v_and_b32_e32 v52, v52, v2
	v_lshlrev_b32_e32 v2, 28, v3
	v_cmp_gt_i64_e32 vcc, 0, v[1:2]
	v_not_b32_e32 v2, v2
	v_ashrrev_i32_e32 v2, 31, v2
	v_and_b32_e32 v53, v53, v55
	v_xor_b32_e32 v55, vcc_hi, v2
	v_xor_b32_e32 v2, vcc_lo, v2
	v_and_b32_e32 v52, v52, v2
	v_lshlrev_b32_e32 v2, 27, v3
	v_cmp_gt_i64_e32 vcc, 0, v[1:2]
	v_not_b32_e32 v2, v2
	v_ashrrev_i32_e32 v2, 31, v2
	v_xor_b32_e32 v3, vcc_hi, v2
	v_xor_b32_e32 v2, vcc_lo, v2
	; wave barrier
	ds_read_b32 v24, v54 offset:32
	v_and_b32_e32 v53, v53, v55
	v_and_b32_e32 v2, v52, v2
	;; [unrolled: 1-line block ×3, first 2 shown]
	v_mbcnt_lo_u32_b32 v52, v2, 0
	v_mbcnt_hi_u32_b32 v52, v3, v52
	v_cmp_ne_u64_e32 vcc, 0, v[2:3]
	v_cmp_eq_u32_e64 s[0:1], 0, v52
	s_and_b64 s[2:3], vcc, s[0:1]
	; wave barrier
	s_and_saveexec_b64 s[0:1], s[2:3]
	s_cbranch_execz .LBB15_191
; %bb.190:
	v_bcnt_u32_b32 v2, v2, 0
	v_bcnt_u32_b32 v2, v3, v2
	s_waitcnt lgkmcnt(0)
	v_add_u32_e32 v2, v24, v2
	ds_write_b32 v54, v2 offset:32
.LBB15_191:
	s_or_b64 exec, exec, s[0:1]
	v_xor_b32_e32 v3, 0x7fffffff, v18
	v_lshrrev_b32_e32 v2, s68, v3
	v_and_b32_e32 v55, s14, v2
	v_mul_lo_u32 v2, v55, 36
	v_and_b32_e32 v56, 1, v55
	; wave barrier
	v_lshl_add_u32 v18, v23, 2, v2
	v_add_co_u32_e32 v2, vcc, -1, v56
	v_addc_co_u32_e64 v23, s[0:1], 0, -1, vcc
	v_cmp_ne_u32_e32 vcc, 0, v56
	v_xor_b32_e32 v2, vcc_lo, v2
	v_and_b32_e32 v56, exec_lo, v2
	v_lshlrev_b32_e32 v2, 30, v55
	v_xor_b32_e32 v23, vcc_hi, v23
	v_cmp_gt_i64_e32 vcc, 0, v[1:2]
	v_not_b32_e32 v2, v2
	v_ashrrev_i32_e32 v2, 31, v2
	v_xor_b32_e32 v57, vcc_hi, v2
	v_xor_b32_e32 v2, vcc_lo, v2
	v_and_b32_e32 v56, v56, v2
	v_lshlrev_b32_e32 v2, 29, v55
	v_cmp_gt_i64_e32 vcc, 0, v[1:2]
	v_not_b32_e32 v2, v2
	v_and_b32_e32 v23, exec_hi, v23
	v_ashrrev_i32_e32 v2, 31, v2
	v_and_b32_e32 v23, v23, v57
	v_xor_b32_e32 v57, vcc_hi, v2
	v_xor_b32_e32 v2, vcc_lo, v2
	v_and_b32_e32 v56, v56, v2
	v_lshlrev_b32_e32 v2, 28, v55
	v_cmp_gt_i64_e32 vcc, 0, v[1:2]
	v_not_b32_e32 v2, v2
	v_ashrrev_i32_e32 v2, 31, v2
	v_and_b32_e32 v23, v23, v57
	v_xor_b32_e32 v57, vcc_hi, v2
	v_xor_b32_e32 v2, vcc_lo, v2
	v_and_b32_e32 v56, v56, v2
	v_lshlrev_b32_e32 v2, 27, v55
	v_cmp_gt_i64_e32 vcc, 0, v[1:2]
	v_not_b32_e32 v1, v2
	v_ashrrev_i32_e32 v1, 31, v1
	v_xor_b32_e32 v2, vcc_hi, v1
	v_xor_b32_e32 v1, vcc_lo, v1
	ds_read_b32 v53, v18 offset:32
	v_and_b32_e32 v23, v23, v57
	v_and_b32_e32 v1, v56, v1
	;; [unrolled: 1-line block ×3, first 2 shown]
	v_mbcnt_lo_u32_b32 v23, v1, 0
	v_mbcnt_hi_u32_b32 v55, v2, v23
	v_cmp_ne_u64_e32 vcc, 0, v[1:2]
	v_cmp_eq_u32_e64 s[0:1], 0, v55
	s_and_b64 s[2:3], vcc, s[0:1]
	; wave barrier
	s_and_saveexec_b64 s[0:1], s[2:3]
	s_cbranch_execz .LBB15_193
; %bb.192:
	v_bcnt_u32_b32 v1, v1, 0
	v_bcnt_u32_b32 v1, v2, v1
	s_waitcnt lgkmcnt(0)
	v_add_u32_e32 v1, v53, v1
	ds_write_b32 v18, v1 offset:32
.LBB15_193:
	s_or_b64 exec, exec, s[0:1]
	; wave barrier
	s_waitcnt lgkmcnt(0)
	s_barrier
	ds_read_b32 v1, v9 offset:32
	v_and_b32_e32 v2, 15, v5
	v_cmp_ne_u32_e32 vcc, 0, v2
	v_min_u32_e32 v7, 0x1c0, v7
	v_or_b32_e32 v7, 63, v7
	s_waitcnt lgkmcnt(0)
	v_mov_b32_dpp v23, v1 row_shr:1 row_mask:0xf bank_mask:0xf
	v_cndmask_b32_e32 v23, 0, v23, vcc
	v_add_u32_e32 v1, v23, v1
	v_cmp_lt_u32_e32 vcc, 1, v2
	s_nop 0
	v_mov_b32_dpp v23, v1 row_shr:2 row_mask:0xf bank_mask:0xf
	v_cndmask_b32_e32 v23, 0, v23, vcc
	v_add_u32_e32 v1, v1, v23
	v_cmp_lt_u32_e32 vcc, 3, v2
	s_nop 0
	;; [unrolled: 5-line block ×3, first 2 shown]
	v_mov_b32_dpp v23, v1 row_shr:8 row_mask:0xf bank_mask:0xf
	v_cndmask_b32_e32 v2, 0, v23, vcc
	v_add_u32_e32 v1, v1, v2
	v_bfe_i32 v23, v5, 4, 1
	v_cmp_lt_u32_e32 vcc, 31, v5
	v_mov_b32_dpp v2, v1 row_bcast:15 row_mask:0xf bank_mask:0xf
	v_and_b32_e32 v2, v23, v2
	v_add_u32_e32 v1, v1, v2
	s_nop 1
	v_mov_b32_dpp v2, v1 row_bcast:31 row_mask:0xf bank_mask:0xf
	v_cndmask_b32_e32 v2, 0, v2, vcc
	v_add_u32_e32 v1, v1, v2
	v_lshrrev_b32_e32 v2, 6, v0
	v_cmp_eq_u32_e32 vcc, v0, v7
	s_and_saveexec_b64 s[0:1], vcc
; %bb.194:
	v_lshlrev_b32_e32 v7, 2, v2
	ds_write_b32 v7, v1
; %bb.195:
	s_or_b64 exec, exec, s[0:1]
	v_cmp_gt_u32_e32 vcc, 8, v0
	s_waitcnt lgkmcnt(0)
	s_barrier
	s_and_saveexec_b64 s[0:1], vcc
	s_cbranch_execz .LBB15_197
; %bb.196:
	ds_read_b32 v7, v9
	v_and_b32_e32 v23, 7, v5
	v_cmp_ne_u32_e32 vcc, 0, v23
	s_waitcnt lgkmcnt(0)
	v_mov_b32_dpp v56, v7 row_shr:1 row_mask:0xf bank_mask:0xf
	v_cndmask_b32_e32 v56, 0, v56, vcc
	v_add_u32_e32 v7, v56, v7
	v_cmp_lt_u32_e32 vcc, 1, v23
	s_nop 0
	v_mov_b32_dpp v56, v7 row_shr:2 row_mask:0xf bank_mask:0xf
	v_cndmask_b32_e32 v56, 0, v56, vcc
	v_add_u32_e32 v7, v7, v56
	v_cmp_lt_u32_e32 vcc, 3, v23
	s_nop 0
	v_mov_b32_dpp v56, v7 row_shr:4 row_mask:0xf bank_mask:0xf
	v_cndmask_b32_e32 v23, 0, v56, vcc
	v_add_u32_e32 v7, v7, v23
	ds_write_b32 v9, v7
.LBB15_197:
	s_or_b64 exec, exec, s[0:1]
	v_cmp_lt_u32_e32 vcc, 63, v0
	v_mov_b32_e32 v7, 0
	s_waitcnt lgkmcnt(0)
	s_barrier
	s_and_saveexec_b64 s[0:1], vcc
; %bb.198:
	v_lshl_add_u32 v2, v2, 2, -4
	ds_read_b32 v7, v2
; %bb.199:
	s_or_b64 exec, exec, s[0:1]
	v_add_u32_e32 v2, -1, v5
	v_and_b32_e32 v23, 64, v5
	v_cmp_lt_i32_e32 vcc, v2, v23
	v_cndmask_b32_e32 v2, v2, v5, vcc
	s_waitcnt lgkmcnt(0)
	v_add_u32_e32 v1, v7, v1
	v_lshlrev_b32_e32 v2, 2, v2
	ds_bpermute_b32 v1, v2, v1
	v_cmp_eq_u32_e32 vcc, 0, v5
	v_cmp_gt_u32_e64 s[0:1], 32, v0
	s_waitcnt lgkmcnt(0)
	v_cndmask_b32_e32 v1, v1, v7, vcc
	ds_write_b32 v9, v1 offset:32
	s_waitcnt lgkmcnt(0)
	s_barrier
	ds_read_b32 v60, v14 offset:32
	ds_read_b32 v59, v16 offset:32
	;; [unrolled: 1-line block ×12, first 2 shown]
	v_mov_b32_e32 v1, 0
	v_cmp_lt_u32_e32 vcc, 31, v0
	v_mov_b32_e32 v2, 0
                                        ; implicit-def: $vgpr14
	s_and_saveexec_b64 s[4:5], s[0:1]
	s_cbranch_execz .LBB15_203
; %bb.200:
	v_mul_u32_u24_e32 v1, 36, v0
	ds_read_b32 v1, v1 offset:32
	v_add_u32_e32 v14, 1, v0
	v_cmp_ne_u32_e64 s[2:3], 32, v14
	v_mov_b32_e32 v2, 0x1800
	s_and_saveexec_b64 s[10:11], s[2:3]
; %bb.201:
	v_mul_u32_u24_e32 v2, 36, v14
	ds_read_b32 v2, v2 offset:32
; %bb.202:
	s_or_b64 exec, exec, s[10:11]
	s_waitcnt lgkmcnt(0)
	v_sub_u32_e32 v14, v2, v1
	v_mov_b32_e32 v2, 0
.LBB15_203:
	s_or_b64 exec, exec, s[4:5]
	v_lshlrev_b32_e32 v8, 2, v8
	s_waitcnt lgkmcnt(11)
	v_lshl_add_u32 v16, v60, 2, v8
	s_waitcnt lgkmcnt(0)
	s_barrier
	ds_write_b32 v16, v6 offset:256
	v_lshlrev_b32_e32 v6, 2, v59
	v_lshlrev_b32_e32 v4, 2, v4
	;; [unrolled: 1-line block ×3, first 2 shown]
	v_add3_u32 v13, v6, v4, v8
	v_lshlrev_b32_e32 v4, 2, v58
	v_lshlrev_b32_e32 v6, 2, v19
	v_lshlrev_b32_e32 v8, 2, v17
	v_add3_u32 v17, v4, v6, v8
	v_lshlrev_b32_e32 v4, 2, v57
	v_lshlrev_b32_e32 v6, 2, v25
	;; [unrolled: 1-line block ×3, first 2 shown]
	ds_write_b32 v13, v12 offset:256
	ds_write_b32 v17, v15 offset:256
	v_add3_u32 v15, v4, v6, v8
	v_lshlrev_b32_e32 v4, 2, v56
	v_lshlrev_b32_e32 v6, 2, v30
	v_lshlrev_b32_e32 v8, 2, v28
	v_add3_u32 v18, v4, v6, v8
	v_lshlrev_b32_e32 v4, 2, v37
	v_lshlrev_b32_e32 v6, 2, v35
	v_lshlrev_b32_e32 v8, 2, v33
	;; [unrolled: 4-line block ×3, first 2 shown]
	ds_write_b32 v15, v20 offset:256
	v_add3_u32 v20, v4, v6, v8
	v_lshlrev_b32_e32 v4, 2, v21
	v_lshlrev_b32_e32 v6, 2, v43
	v_lshlrev_b32_e32 v8, 2, v41
	v_add3_u32 v21, v4, v6, v8
	v_lshlrev_b32_e32 v4, 2, v27
	v_lshlrev_b32_e32 v6, 2, v46
	v_lshlrev_b32_e32 v8, 2, v44
	;; [unrolled: 4-line block ×5, first 2 shown]
	v_add3_u32 v25, v4, v5, v6
	v_lshlrev_b32_e32 v12, 3, v0
	ds_write_b32 v18, v26 offset:256
	ds_write_b32 v19, v31 offset:256
	;; [unrolled: 1-line block ×8, first 2 shown]
	s_waitcnt lgkmcnt(0)
	s_barrier
	s_and_saveexec_b64 s[2:3], s[0:1]
	s_cbranch_execz .LBB15_213
; %bb.204:
	v_lshl_add_u32 v3, s6, 5, v0
	v_mov_b32_e32 v4, 0
	v_lshlrev_b64 v[5:6], 2, v[3:4]
	v_mov_b32_e32 v26, s73
	v_add_co_u32_e64 v5, s[0:1], s72, v5
	v_addc_co_u32_e64 v6, s[0:1], v26, v6, s[0:1]
	v_or_b32_e32 v3, 2.0, v14
	s_mov_b64 s[4:5], 0
	s_brev_b32 s15, -4
	s_mov_b32 s16, s6
	v_mov_b32_e32 v27, 0
	global_store_dword v[5:6], v3, off
                                        ; implicit-def: $sgpr0_sgpr1
	s_branch .LBB15_207
.LBB15_205:                             ;   in Loop: Header=BB15_207 Depth=1
	s_or_b64 exec, exec, s[12:13]
.LBB15_206:                             ;   in Loop: Header=BB15_207 Depth=1
	s_or_b64 exec, exec, s[10:11]
	v_and_b32_e32 v7, 0x3fffffff, v3
	v_add_u32_e32 v27, v7, v27
	v_cmp_gt_i32_e64 s[0:1], -2.0, v3
	s_and_b64 s[10:11], exec, s[0:1]
	s_or_b64 s[4:5], s[10:11], s[4:5]
	s_andn2_b64 exec, exec, s[4:5]
	s_cbranch_execz .LBB15_212
.LBB15_207:                             ; =>This Loop Header: Depth=1
                                        ;     Child Loop BB15_210 Depth 2
	s_or_b64 s[0:1], s[0:1], exec
	s_cmp_eq_u32 s16, 0
	s_cbranch_scc1 .LBB15_211
; %bb.208:                              ;   in Loop: Header=BB15_207 Depth=1
	s_add_i32 s16, s16, -1
	v_lshl_or_b32 v3, s16, 5, v0
	v_lshlrev_b64 v[7:8], 2, v[3:4]
	v_add_co_u32_e64 v7, s[0:1], s72, v7
	v_addc_co_u32_e64 v8, s[0:1], v26, v8, s[0:1]
	global_load_dword v3, v[7:8], off glc
	s_waitcnt vmcnt(0)
	v_cmp_gt_u32_e64 s[0:1], 2.0, v3
	s_and_saveexec_b64 s[10:11], s[0:1]
	s_cbranch_execz .LBB15_206
; %bb.209:                              ;   in Loop: Header=BB15_207 Depth=1
	s_mov_b64 s[12:13], 0
.LBB15_210:                             ;   Parent Loop BB15_207 Depth=1
                                        ; =>  This Inner Loop Header: Depth=2
	global_load_dword v3, v[7:8], off glc
	s_waitcnt vmcnt(0)
	v_cmp_lt_u32_e64 s[0:1], s15, v3
	s_or_b64 s[12:13], s[0:1], s[12:13]
	s_andn2_b64 exec, exec, s[12:13]
	s_cbranch_execnz .LBB15_210
	s_branch .LBB15_205
.LBB15_211:                             ;   in Loop: Header=BB15_207 Depth=1
                                        ; implicit-def: $sgpr16
	s_and_b64 s[10:11], exec, s[0:1]
	s_or_b64 s[4:5], s[10:11], s[4:5]
	s_andn2_b64 exec, exec, s[4:5]
	s_cbranch_execnz .LBB15_207
.LBB15_212:
	s_or_b64 exec, exec, s[4:5]
	v_add_u32_e32 v0, v27, v14
	v_or_b32_e32 v0, 0x80000000, v0
	global_store_dword v[5:6], v0, off
	global_load_dwordx2 v[3:4], v12, s[64:65]
	v_sub_co_u32_e64 v0, s[0:1], v27, v1
	v_subb_co_u32_e64 v5, s[0:1], 0, v2, s[0:1]
	s_waitcnt vmcnt(0)
	v_add_co_u32_e64 v3, s[0:1], v0, v3
	v_addc_co_u32_e64 v4, s[0:1], v5, v4, s[0:1]
	ds_write_b64 v12, v[3:4]
.LBB15_213:
	s_or_b64 exec, exec, s[2:3]
	v_sub_u32_e32 v0, v12, v9
	s_waitcnt lgkmcnt(0)
	s_barrier
	ds_read2st64_b32 v[6:7], v0 offset0:1 offset1:9
	v_mov_b32_e32 v36, s59
	v_mov_b32_e32 v50, s59
	s_waitcnt lgkmcnt(0)
	v_lshrrev_b32_e32 v3, s68, v6
	v_and_b32_e32 v3, s14, v3
	v_lshlrev_b32_e32 v3, 3, v3
	ds_read2st64_b32 v[26:27], v0 offset0:17 offset1:25
	ds_read_b64 v[28:29], v3
	v_lshrrev_b32_e32 v4, s68, v7
	v_and_b32_e32 v4, s14, v4
	v_xor_b32_e32 v8, 0x7fffffff, v6
	v_lshlrev_b32_e32 v6, 3, v4
	s_waitcnt lgkmcnt(0)
	v_lshlrev_b64 v[28:29], 2, v[28:29]
	v_lshrrev_b32_e32 v4, s68, v26
	v_lshrrev_b32_e32 v5, s68, v27
	v_and_b32_e32 v4, s14, v4
	v_and_b32_e32 v5, s14, v5
	v_add_co_u32_e64 v28, s[0:1], s58, v28
	v_lshlrev_b32_e32 v4, 3, v4
	v_lshlrev_b32_e32 v5, 3, v5
	ds_read_b64 v[30:31], v6
	ds_read_b64 v[32:33], v4
	;; [unrolled: 1-line block ×3, first 2 shown]
	v_addc_co_u32_e64 v29, s[0:1], v36, v29, s[0:1]
	v_add_co_u32_e64 v28, s[0:1], v28, v9
	v_addc_co_u32_e64 v29, s[0:1], 0, v29, s[0:1]
	global_store_dword v[28:29], v8, off
	v_xor_b32_e32 v28, 0x7fffffff, v7
	s_waitcnt lgkmcnt(2)
	v_lshlrev_b64 v[7:8], 2, v[30:31]
	v_mov_b32_e32 v29, s59
	v_add_co_u32_e64 v7, s[0:1], s58, v7
	v_addc_co_u32_e64 v8, s[0:1], v29, v8, s[0:1]
	v_add_co_u32_e64 v7, s[0:1], v7, v9
	v_addc_co_u32_e64 v8, s[0:1], 0, v8, s[0:1]
	global_store_dword v[7:8], v28, off offset:2048
	s_waitcnt lgkmcnt(1)
	v_lshlrev_b64 v[7:8], 2, v[32:33]
	v_mov_b32_e32 v28, s59
	v_add_co_u32_e64 v29, s[0:1], s58, v7
	v_addc_co_u32_e64 v8, s[0:1], v28, v8, s[0:1]
	v_or_b32_e32 v7, 0x1000, v9
	v_add_co_u32_e64 v28, s[0:1], v29, v7
	v_xor_b32_e32 v26, 0x7fffffff, v26
	v_addc_co_u32_e64 v29, s[0:1], 0, v8, s[0:1]
	global_store_dword v[28:29], v26, off
	v_xor_b32_e32 v28, 0x7fffffff, v27
	s_waitcnt lgkmcnt(0)
	v_lshlrev_b64 v[26:27], 2, v[34:35]
	ds_read2st64_b32 v[30:31], v0 offset0:33 offset1:41
	v_mov_b32_e32 v8, s59
	v_add_co_u32_e64 v26, s[0:1], s58, v26
	v_addc_co_u32_e64 v27, s[0:1], v8, v27, s[0:1]
	v_or_b32_e32 v8, 0x1800, v9
	v_add_co_u32_e64 v26, s[0:1], v26, v8
	v_addc_co_u32_e64 v27, s[0:1], 0, v27, s[0:1]
	global_store_dword v[26:27], v28, off
	s_waitcnt lgkmcnt(0)
	v_lshrrev_b32_e32 v26, s68, v30
	v_and_b32_e32 v26, s14, v26
	v_lshlrev_b32_e32 v26, 3, v26
	ds_read2st64_b32 v[32:33], v0 offset0:49 offset1:57
	ds_read_b64 v[34:35], v26
	v_lshrrev_b32_e32 v27, s68, v31
	v_and_b32_e32 v27, s14, v27
	v_lshlrev_b32_e32 v29, 3, v27
	s_waitcnt lgkmcnt(1)
	v_lshrrev_b32_e32 v27, s68, v32
	s_waitcnt lgkmcnt(0)
	v_lshlrev_b64 v[34:35], 2, v[34:35]
	v_lshrrev_b32_e32 v28, s68, v33
	v_xor_b32_e32 v42, 0x7fffffff, v30
	v_and_b32_e32 v27, s14, v27
	v_and_b32_e32 v28, s14, v28
	v_mov_b32_e32 v30, s59
	v_add_co_u32_e64 v34, s[0:1], s58, v34
	v_lshlrev_b32_e32 v27, 3, v27
	v_lshlrev_b32_e32 v28, 3, v28
	ds_read_b64 v[36:37], v29
	ds_read_b64 v[38:39], v27
	;; [unrolled: 1-line block ×3, first 2 shown]
	v_addc_co_u32_e64 v35, s[0:1], v30, v35, s[0:1]
	v_or_b32_e32 v30, 0x2000, v9
	v_add_co_u32_e64 v34, s[0:1], v34, v30
	v_addc_co_u32_e64 v35, s[0:1], 0, v35, s[0:1]
	global_store_dword v[34:35], v42, off
	s_waitcnt lgkmcnt(2)
	v_lshlrev_b64 v[34:35], 2, v[36:37]
	v_xor_b32_e32 v42, 0x7fffffff, v31
	v_mov_b32_e32 v31, s59
	v_add_co_u32_e64 v34, s[0:1], s58, v34
	v_addc_co_u32_e64 v35, s[0:1], v31, v35, s[0:1]
	v_or_b32_e32 v31, 0x2800, v9
	v_add_co_u32_e64 v34, s[0:1], v34, v31
	v_addc_co_u32_e64 v35, s[0:1], 0, v35, s[0:1]
	global_store_dword v[34:35], v42, off
	s_waitcnt lgkmcnt(1)
	v_lshlrev_b64 v[34:35], 2, v[38:39]
	v_xor_b32_e32 v36, 0x7fffffff, v32
	v_mov_b32_e32 v32, s59
	v_add_co_u32_e64 v34, s[0:1], s58, v34
	v_addc_co_u32_e64 v35, s[0:1], v32, v35, s[0:1]
	v_or_b32_e32 v32, 0x3000, v9
	v_add_co_u32_e64 v34, s[0:1], v34, v32
	v_addc_co_u32_e64 v35, s[0:1], 0, v35, s[0:1]
	global_store_dword v[34:35], v36, off
	v_xor_b32_e32 v38, 0x7fffffff, v33
	s_waitcnt lgkmcnt(0)
	v_lshlrev_b64 v[33:34], 2, v[40:41]
	v_mov_b32_e32 v35, s59
	v_add_co_u32_e64 v36, s[0:1], s58, v33
	v_addc_co_u32_e64 v37, s[0:1], v35, v34, s[0:1]
	ds_read2st64_b32 v[34:35], v0 offset0:65 offset1:73
	v_or_b32_e32 v33, 0x3800, v9
	v_add_co_u32_e64 v36, s[0:1], v36, v33
	v_addc_co_u32_e64 v37, s[0:1], 0, v37, s[0:1]
	global_store_dword v[36:37], v38, off
	s_waitcnt lgkmcnt(0)
	v_lshrrev_b32_e32 v36, s68, v34
	v_and_b32_e32 v36, s14, v36
	v_xor_b32_e32 v46, 0x7fffffff, v34
	v_lshlrev_b32_e32 v34, 3, v36
	ds_read2st64_b32 v[36:37], v0 offset0:81 offset1:89
	ds_read_b64 v[38:39], v34
	v_lshrrev_b32_e32 v40, s68, v35
	v_and_b32_e32 v40, s14, v40
	v_lshlrev_b32_e32 v47, 3, v40
	s_waitcnt lgkmcnt(1)
	v_lshrrev_b32_e32 v40, s68, v36
	v_and_b32_e32 v40, s14, v40
	s_waitcnt lgkmcnt(0)
	v_lshlrev_b64 v[38:39], 2, v[38:39]
	v_lshlrev_b32_e32 v48, 3, v40
	v_lshrrev_b32_e32 v40, s68, v37
	v_and_b32_e32 v40, s14, v40
	v_add_co_u32_e64 v38, s[0:1], s58, v38
	v_lshlrev_b32_e32 v49, 3, v40
	ds_read_b64 v[40:41], v47
	ds_read_b64 v[42:43], v48
	;; [unrolled: 1-line block ×3, first 2 shown]
	v_addc_co_u32_e64 v39, s[0:1], v50, v39, s[0:1]
	v_or_b32_e32 v50, 0x4000, v9
	v_add_co_u32_e64 v38, s[0:1], v38, v50
	v_addc_co_u32_e64 v39, s[0:1], 0, v39, s[0:1]
	global_store_dword v[38:39], v46, off
	s_waitcnt lgkmcnt(2)
	v_lshlrev_b64 v[38:39], 2, v[40:41]
	v_mov_b32_e32 v40, s59
	v_add_co_u32_e64 v38, s[0:1], s58, v38
	v_addc_co_u32_e64 v39, s[0:1], v40, v39, s[0:1]
	v_or_b32_e32 v40, 0x4800, v9
	v_add_co_u32_e64 v38, s[0:1], v38, v40
	v_xor_b32_e32 v35, 0x7fffffff, v35
	v_addc_co_u32_e64 v39, s[0:1], 0, v39, s[0:1]
	global_store_dword v[38:39], v35, off
	v_xor_b32_e32 v38, 0x7fffffff, v36
	s_waitcnt lgkmcnt(1)
	v_lshlrev_b64 v[35:36], 2, v[42:43]
	v_mov_b32_e32 v39, s59
	v_add_co_u32_e64 v35, s[0:1], s58, v35
	v_addc_co_u32_e64 v36, s[0:1], v39, v36, s[0:1]
	v_or_b32_e32 v39, 0x5000, v9
	v_add_co_u32_e64 v35, s[0:1], v35, v39
	v_addc_co_u32_e64 v36, s[0:1], 0, v36, s[0:1]
	global_store_dword v[35:36], v38, off
	s_waitcnt lgkmcnt(0)
	v_lshlrev_b64 v[35:36], 2, v[44:45]
	v_mov_b32_e32 v38, s59
	v_add_co_u32_e64 v35, s[0:1], s58, v35
	v_addc_co_u32_e64 v36, s[0:1], v38, v36, s[0:1]
	v_or_b32_e32 v38, 0x5800, v9
	v_add_co_u32_e64 v35, s[0:1], v35, v38
	v_addc_co_u32_e64 v36, s[0:1], 0, v36, s[0:1]
	s_add_u32 s0, s60, s8
	v_xor_b32_e32 v37, 0x7fffffff, v37
	s_addc_u32 s1, s61, s9
	global_store_dword v[35:36], v37, off
	v_mov_b32_e32 v35, s1
	v_add_co_u32_e64 v10, s[0:1], s0, v10
	v_addc_co_u32_e64 v35, s[0:1], 0, v35, s[0:1]
	v_add_co_u32_e64 v10, s[0:1], v10, v11
	v_addc_co_u32_e64 v11, s[0:1], 0, v35, s[0:1]
	global_load_dword v35, v[10:11], off
	global_load_dword v36, v[10:11], off offset:256
	global_load_dword v37, v[10:11], off offset:512
	;; [unrolled: 1-line block ×11, first 2 shown]
	s_waitcnt vmcnt(0)
	s_barrier
	ds_write_b32 v16, v35 offset:256
	ds_write_b32 v13, v36 offset:256
	ds_write_b32 v17, v37 offset:256
	ds_write_b32 v15, v41 offset:256
	ds_write_b32 v18, v42 offset:256
	ds_write_b32 v19, v43 offset:256
	ds_write_b32 v20, v44 offset:256
	ds_write_b32 v21, v45 offset:256
	ds_write_b32 v22, v46 offset:256
	ds_write_b32 v23, v51 offset:256
	ds_write_b32 v24, v52 offset:256
	ds_write_b32 v25, v53 offset:256
	s_waitcnt lgkmcnt(0)
	s_barrier
	ds_read_b64 v[10:11], v3
	ds_read2st64_b32 v[15:16], v0 offset0:1 offset1:9
	ds_read_b64 v[17:18], v6
	ds_read_b64 v[3:4], v4
	;; [unrolled: 1-line block ×3, first 2 shown]
	s_waitcnt lgkmcnt(4)
	v_lshlrev_b64 v[10:11], 2, v[10:11]
	v_mov_b32_e32 v13, s63
	v_add_co_u32_e64 v10, s[0:1], s62, v10
	v_addc_co_u32_e64 v11, s[0:1], v13, v11, s[0:1]
	v_add_co_u32_e64 v10, s[0:1], v10, v9
	v_addc_co_u32_e64 v11, s[0:1], 0, v11, s[0:1]
	s_waitcnt lgkmcnt(3)
	global_store_dword v[10:11], v15, off
	s_waitcnt lgkmcnt(2)
	v_lshlrev_b64 v[10:11], 2, v[17:18]
	s_waitcnt lgkmcnt(1)
	v_lshlrev_b64 v[3:4], 2, v[3:4]
	v_add_co_u32_e64 v10, s[0:1], s62, v10
	v_addc_co_u32_e64 v11, s[0:1], v13, v11, s[0:1]
	v_add_co_u32_e64 v9, s[0:1], v10, v9
	v_addc_co_u32_e64 v10, s[0:1], 0, v11, s[0:1]
	global_store_dword v[9:10], v16, off offset:2048
	ds_read2st64_b32 v[9:10], v0 offset0:17 offset1:25
	v_mov_b32_e32 v11, s63
	v_add_co_u32_e64 v3, s[0:1], s62, v3
	v_addc_co_u32_e64 v4, s[0:1], v11, v4, s[0:1]
	v_add_co_u32_e64 v3, s[0:1], v3, v7
	v_addc_co_u32_e64 v4, s[0:1], 0, v4, s[0:1]
	s_waitcnt lgkmcnt(0)
	global_store_dword v[3:4], v9, off
	v_lshlrev_b64 v[3:4], 2, v[5:6]
	v_mov_b32_e32 v5, s63
	v_add_co_u32_e64 v3, s[0:1], s62, v3
	v_addc_co_u32_e64 v4, s[0:1], v5, v4, s[0:1]
	v_add_co_u32_e64 v3, s[0:1], v3, v8
	v_addc_co_u32_e64 v4, s[0:1], 0, v4, s[0:1]
	global_store_dword v[3:4], v10, off
	ds_read_b64 v[3:4], v26
	ds_read2st64_b32 v[5:6], v0 offset0:33 offset1:41
	ds_read_b64 v[7:8], v29
	ds_read_b64 v[9:10], v27
	ds_read_b64 v[15:16], v28
	s_waitcnt lgkmcnt(4)
	v_lshlrev_b64 v[3:4], 2, v[3:4]
	s_add_i32 s7, s7, -1
	v_add_co_u32_e64 v3, s[0:1], s62, v3
	v_addc_co_u32_e64 v4, s[0:1], v11, v4, s[0:1]
	v_add_co_u32_e64 v3, s[0:1], v3, v30
	v_addc_co_u32_e64 v4, s[0:1], 0, v4, s[0:1]
	s_waitcnt lgkmcnt(3)
	global_store_dword v[3:4], v5, off
	s_waitcnt lgkmcnt(2)
	v_lshlrev_b64 v[3:4], 2, v[7:8]
	v_mov_b32_e32 v5, s63
	v_add_co_u32_e64 v3, s[0:1], s62, v3
	v_addc_co_u32_e64 v4, s[0:1], v5, v4, s[0:1]
	v_add_co_u32_e64 v3, s[0:1], v3, v31
	v_addc_co_u32_e64 v4, s[0:1], 0, v4, s[0:1]
	global_store_dword v[3:4], v6, off
	s_waitcnt lgkmcnt(1)
	v_lshlrev_b64 v[5:6], 2, v[9:10]
	ds_read2st64_b32 v[3:4], v0 offset0:49 offset1:57
	v_mov_b32_e32 v7, s63
	v_add_co_u32_e64 v5, s[0:1], s62, v5
	v_addc_co_u32_e64 v6, s[0:1], v7, v6, s[0:1]
	v_add_co_u32_e64 v5, s[0:1], v5, v32
	v_addc_co_u32_e64 v6, s[0:1], 0, v6, s[0:1]
	s_waitcnt lgkmcnt(0)
	global_store_dword v[5:6], v3, off
	v_lshlrev_b64 v[5:6], 2, v[15:16]
	v_mov_b32_e32 v3, s63
	v_add_co_u32_e64 v5, s[0:1], s62, v5
	v_addc_co_u32_e64 v3, s[0:1], v3, v6, s[0:1]
	v_add_co_u32_e64 v5, s[0:1], v5, v33
	v_addc_co_u32_e64 v6, s[0:1], 0, v3, s[0:1]
	global_store_dword v[5:6], v4, off
	ds_read_b64 v[3:4], v34
	ds_read2st64_b32 v[5:6], v0 offset0:65 offset1:73
	ds_read_b64 v[7:8], v47
	ds_read_b64 v[9:10], v48
	;; [unrolled: 1-line block ×3, first 2 shown]
	s_waitcnt lgkmcnt(4)
	v_lshlrev_b64 v[3:4], 2, v[3:4]
	s_cmp_eq_u32 s6, s7
	v_add_co_u32_e64 v3, s[0:1], s62, v3
	v_addc_co_u32_e64 v4, s[0:1], v11, v4, s[0:1]
	v_add_co_u32_e64 v3, s[0:1], v3, v50
	v_addc_co_u32_e64 v4, s[0:1], 0, v4, s[0:1]
	s_waitcnt lgkmcnt(3)
	global_store_dword v[3:4], v5, off
	s_waitcnt lgkmcnt(2)
	v_lshlrev_b64 v[3:4], 2, v[7:8]
	v_mov_b32_e32 v5, s63
	v_add_co_u32_e64 v3, s[0:1], s62, v3
	v_addc_co_u32_e64 v4, s[0:1], v5, v4, s[0:1]
	v_add_co_u32_e64 v3, s[0:1], v3, v40
	v_addc_co_u32_e64 v4, s[0:1], 0, v4, s[0:1]
	global_store_dword v[3:4], v6, off
	s_waitcnt lgkmcnt(1)
	v_lshlrev_b64 v[5:6], 2, v[9:10]
	ds_read2st64_b32 v[3:4], v0 offset0:81 offset1:89
	v_mov_b32_e32 v0, s63
	v_add_co_u32_e64 v5, s[0:1], s62, v5
	v_addc_co_u32_e64 v0, s[0:1], v0, v6, s[0:1]
	v_add_co_u32_e64 v5, s[0:1], v5, v39
	v_addc_co_u32_e64 v6, s[0:1], 0, v0, s[0:1]
	s_waitcnt lgkmcnt(0)
	global_store_dword v[5:6], v3, off
	v_lshlrev_b64 v[5:6], 2, v[15:16]
	v_mov_b32_e32 v0, s63
	v_add_co_u32_e64 v3, s[0:1], s62, v5
	v_addc_co_u32_e64 v0, s[0:1], v0, v6, s[0:1]
	v_add_co_u32_e64 v5, s[0:1], v3, v38
	v_addc_co_u32_e64 v6, s[0:1], 0, v0, s[0:1]
	s_cselect_b64 s[0:1], -1, 0
	s_xor_b64 s[2:3], vcc, -1
	s_and_b64 s[0:1], s[2:3], s[0:1]
	global_store_dword v[5:6], v4, off
	s_and_saveexec_b64 s[2:3], s[0:1]
	s_cbranch_execz .LBB15_215
; %bb.214:
	ds_read_b64 v[3:4], v12
	v_add_co_u32_e32 v0, vcc, v1, v14
	v_addc_co_u32_e32 v1, vcc, 0, v2, vcc
	s_waitcnt lgkmcnt(0)
	v_add_co_u32_e32 v0, vcc, v0, v3
	v_addc_co_u32_e32 v1, vcc, v1, v4, vcc
	global_store_dwordx2 v12, v[0:1], s[66:67]
.LBB15_215:
	s_endpgm
	.section	.rodata,"a",@progbits
	.p2align	6, 0x0
	.amdhsa_kernel _ZN7rocprim17ROCPRIM_304000_NS6detail25onesweep_iteration_kernelINS1_34wrapped_radix_sort_onesweep_configINS0_14default_configEiN2at4cuda3cub6detail10OpaqueTypeILi4EEEEELb1EPiSC_PSA_SD_mNS0_19identity_decomposerEEEvT1_T2_T3_T4_jPT5_SK_PNS1_23onesweep_lookback_stateET6_jjj
		.amdhsa_group_segment_fixed_size 24832
		.amdhsa_private_segment_fixed_size 0
		.amdhsa_kernarg_size 336
		.amdhsa_user_sgpr_count 6
		.amdhsa_user_sgpr_private_segment_buffer 1
		.amdhsa_user_sgpr_dispatch_ptr 0
		.amdhsa_user_sgpr_queue_ptr 0
		.amdhsa_user_sgpr_kernarg_segment_ptr 1
		.amdhsa_user_sgpr_dispatch_id 0
		.amdhsa_user_sgpr_flat_scratch_init 0
		.amdhsa_user_sgpr_private_segment_size 0
		.amdhsa_uses_dynamic_stack 0
		.amdhsa_system_sgpr_private_segment_wavefront_offset 0
		.amdhsa_system_sgpr_workgroup_id_x 1
		.amdhsa_system_sgpr_workgroup_id_y 0
		.amdhsa_system_sgpr_workgroup_id_z 0
		.amdhsa_system_sgpr_workgroup_info 0
		.amdhsa_system_vgpr_workitem_id 2
		.amdhsa_next_free_vgpr 63
		.amdhsa_next_free_sgpr 98
		.amdhsa_reserve_vcc 1
		.amdhsa_reserve_flat_scratch 0
		.amdhsa_float_round_mode_32 0
		.amdhsa_float_round_mode_16_64 0
		.amdhsa_float_denorm_mode_32 3
		.amdhsa_float_denorm_mode_16_64 3
		.amdhsa_dx10_clamp 1
		.amdhsa_ieee_mode 1
		.amdhsa_fp16_overflow 0
		.amdhsa_exception_fp_ieee_invalid_op 0
		.amdhsa_exception_fp_denorm_src 0
		.amdhsa_exception_fp_ieee_div_zero 0
		.amdhsa_exception_fp_ieee_overflow 0
		.amdhsa_exception_fp_ieee_underflow 0
		.amdhsa_exception_fp_ieee_inexact 0
		.amdhsa_exception_int_div_zero 0
	.end_amdhsa_kernel
	.section	.text._ZN7rocprim17ROCPRIM_304000_NS6detail25onesweep_iteration_kernelINS1_34wrapped_radix_sort_onesweep_configINS0_14default_configEiN2at4cuda3cub6detail10OpaqueTypeILi4EEEEELb1EPiSC_PSA_SD_mNS0_19identity_decomposerEEEvT1_T2_T3_T4_jPT5_SK_PNS1_23onesweep_lookback_stateET6_jjj,"axG",@progbits,_ZN7rocprim17ROCPRIM_304000_NS6detail25onesweep_iteration_kernelINS1_34wrapped_radix_sort_onesweep_configINS0_14default_configEiN2at4cuda3cub6detail10OpaqueTypeILi4EEEEELb1EPiSC_PSA_SD_mNS0_19identity_decomposerEEEvT1_T2_T3_T4_jPT5_SK_PNS1_23onesweep_lookback_stateET6_jjj,comdat
.Lfunc_end15:
	.size	_ZN7rocprim17ROCPRIM_304000_NS6detail25onesweep_iteration_kernelINS1_34wrapped_radix_sort_onesweep_configINS0_14default_configEiN2at4cuda3cub6detail10OpaqueTypeILi4EEEEELb1EPiSC_PSA_SD_mNS0_19identity_decomposerEEEvT1_T2_T3_T4_jPT5_SK_PNS1_23onesweep_lookback_stateET6_jjj, .Lfunc_end15-_ZN7rocprim17ROCPRIM_304000_NS6detail25onesweep_iteration_kernelINS1_34wrapped_radix_sort_onesweep_configINS0_14default_configEiN2at4cuda3cub6detail10OpaqueTypeILi4EEEEELb1EPiSC_PSA_SD_mNS0_19identity_decomposerEEEvT1_T2_T3_T4_jPT5_SK_PNS1_23onesweep_lookback_stateET6_jjj
                                        ; -- End function
	.set _ZN7rocprim17ROCPRIM_304000_NS6detail25onesweep_iteration_kernelINS1_34wrapped_radix_sort_onesweep_configINS0_14default_configEiN2at4cuda3cub6detail10OpaqueTypeILi4EEEEELb1EPiSC_PSA_SD_mNS0_19identity_decomposerEEEvT1_T2_T3_T4_jPT5_SK_PNS1_23onesweep_lookback_stateET6_jjj.num_vgpr, 63
	.set _ZN7rocprim17ROCPRIM_304000_NS6detail25onesweep_iteration_kernelINS1_34wrapped_radix_sort_onesweep_configINS0_14default_configEiN2at4cuda3cub6detail10OpaqueTypeILi4EEEEELb1EPiSC_PSA_SD_mNS0_19identity_decomposerEEEvT1_T2_T3_T4_jPT5_SK_PNS1_23onesweep_lookback_stateET6_jjj.num_agpr, 0
	.set _ZN7rocprim17ROCPRIM_304000_NS6detail25onesweep_iteration_kernelINS1_34wrapped_radix_sort_onesweep_configINS0_14default_configEiN2at4cuda3cub6detail10OpaqueTypeILi4EEEEELb1EPiSC_PSA_SD_mNS0_19identity_decomposerEEEvT1_T2_T3_T4_jPT5_SK_PNS1_23onesweep_lookback_stateET6_jjj.numbered_sgpr, 78
	.set _ZN7rocprim17ROCPRIM_304000_NS6detail25onesweep_iteration_kernelINS1_34wrapped_radix_sort_onesweep_configINS0_14default_configEiN2at4cuda3cub6detail10OpaqueTypeILi4EEEEELb1EPiSC_PSA_SD_mNS0_19identity_decomposerEEEvT1_T2_T3_T4_jPT5_SK_PNS1_23onesweep_lookback_stateET6_jjj.num_named_barrier, 0
	.set _ZN7rocprim17ROCPRIM_304000_NS6detail25onesweep_iteration_kernelINS1_34wrapped_radix_sort_onesweep_configINS0_14default_configEiN2at4cuda3cub6detail10OpaqueTypeILi4EEEEELb1EPiSC_PSA_SD_mNS0_19identity_decomposerEEEvT1_T2_T3_T4_jPT5_SK_PNS1_23onesweep_lookback_stateET6_jjj.private_seg_size, 0
	.set _ZN7rocprim17ROCPRIM_304000_NS6detail25onesweep_iteration_kernelINS1_34wrapped_radix_sort_onesweep_configINS0_14default_configEiN2at4cuda3cub6detail10OpaqueTypeILi4EEEEELb1EPiSC_PSA_SD_mNS0_19identity_decomposerEEEvT1_T2_T3_T4_jPT5_SK_PNS1_23onesweep_lookback_stateET6_jjj.uses_vcc, 1
	.set _ZN7rocprim17ROCPRIM_304000_NS6detail25onesweep_iteration_kernelINS1_34wrapped_radix_sort_onesweep_configINS0_14default_configEiN2at4cuda3cub6detail10OpaqueTypeILi4EEEEELb1EPiSC_PSA_SD_mNS0_19identity_decomposerEEEvT1_T2_T3_T4_jPT5_SK_PNS1_23onesweep_lookback_stateET6_jjj.uses_flat_scratch, 0
	.set _ZN7rocprim17ROCPRIM_304000_NS6detail25onesweep_iteration_kernelINS1_34wrapped_radix_sort_onesweep_configINS0_14default_configEiN2at4cuda3cub6detail10OpaqueTypeILi4EEEEELb1EPiSC_PSA_SD_mNS0_19identity_decomposerEEEvT1_T2_T3_T4_jPT5_SK_PNS1_23onesweep_lookback_stateET6_jjj.has_dyn_sized_stack, 0
	.set _ZN7rocprim17ROCPRIM_304000_NS6detail25onesweep_iteration_kernelINS1_34wrapped_radix_sort_onesweep_configINS0_14default_configEiN2at4cuda3cub6detail10OpaqueTypeILi4EEEEELb1EPiSC_PSA_SD_mNS0_19identity_decomposerEEEvT1_T2_T3_T4_jPT5_SK_PNS1_23onesweep_lookback_stateET6_jjj.has_recursion, 0
	.set _ZN7rocprim17ROCPRIM_304000_NS6detail25onesweep_iteration_kernelINS1_34wrapped_radix_sort_onesweep_configINS0_14default_configEiN2at4cuda3cub6detail10OpaqueTypeILi4EEEEELb1EPiSC_PSA_SD_mNS0_19identity_decomposerEEEvT1_T2_T3_T4_jPT5_SK_PNS1_23onesweep_lookback_stateET6_jjj.has_indirect_call, 0
	.section	.AMDGPU.csdata,"",@progbits
; Kernel info:
; codeLenInByte = 16784
; TotalNumSgprs: 82
; NumVgprs: 63
; ScratchSize: 0
; MemoryBound: 0
; FloatMode: 240
; IeeeMode: 1
; LDSByteSize: 24832 bytes/workgroup (compile time only)
; SGPRBlocks: 12
; VGPRBlocks: 15
; NumSGPRsForWavesPerEU: 102
; NumVGPRsForWavesPerEU: 63
; Occupancy: 4
; WaveLimiterHint : 1
; COMPUTE_PGM_RSRC2:SCRATCH_EN: 0
; COMPUTE_PGM_RSRC2:USER_SGPR: 6
; COMPUTE_PGM_RSRC2:TRAP_HANDLER: 0
; COMPUTE_PGM_RSRC2:TGID_X_EN: 1
; COMPUTE_PGM_RSRC2:TGID_Y_EN: 0
; COMPUTE_PGM_RSRC2:TGID_Z_EN: 0
; COMPUTE_PGM_RSRC2:TIDIG_COMP_CNT: 2
	.section	.text._ZN7rocprim17ROCPRIM_304000_NS6detail28radix_sort_block_sort_kernelINS1_36wrapped_radix_sort_block_sort_configINS0_13kernel_configILj256ELj4ELj4294967295EEEiN2at4cuda3cub6detail10OpaqueTypeILi4EEEEELb0EPKiPiPKSB_PSB_NS0_19identity_decomposerEEEvT1_T2_T3_T4_jT5_jj,"axG",@progbits,_ZN7rocprim17ROCPRIM_304000_NS6detail28radix_sort_block_sort_kernelINS1_36wrapped_radix_sort_block_sort_configINS0_13kernel_configILj256ELj4ELj4294967295EEEiN2at4cuda3cub6detail10OpaqueTypeILi4EEEEELb0EPKiPiPKSB_PSB_NS0_19identity_decomposerEEEvT1_T2_T3_T4_jT5_jj,comdat
	.protected	_ZN7rocprim17ROCPRIM_304000_NS6detail28radix_sort_block_sort_kernelINS1_36wrapped_radix_sort_block_sort_configINS0_13kernel_configILj256ELj4ELj4294967295EEEiN2at4cuda3cub6detail10OpaqueTypeILi4EEEEELb0EPKiPiPKSB_PSB_NS0_19identity_decomposerEEEvT1_T2_T3_T4_jT5_jj ; -- Begin function _ZN7rocprim17ROCPRIM_304000_NS6detail28radix_sort_block_sort_kernelINS1_36wrapped_radix_sort_block_sort_configINS0_13kernel_configILj256ELj4ELj4294967295EEEiN2at4cuda3cub6detail10OpaqueTypeILi4EEEEELb0EPKiPiPKSB_PSB_NS0_19identity_decomposerEEEvT1_T2_T3_T4_jT5_jj
	.globl	_ZN7rocprim17ROCPRIM_304000_NS6detail28radix_sort_block_sort_kernelINS1_36wrapped_radix_sort_block_sort_configINS0_13kernel_configILj256ELj4ELj4294967295EEEiN2at4cuda3cub6detail10OpaqueTypeILi4EEEEELb0EPKiPiPKSB_PSB_NS0_19identity_decomposerEEEvT1_T2_T3_T4_jT5_jj
	.p2align	8
	.type	_ZN7rocprim17ROCPRIM_304000_NS6detail28radix_sort_block_sort_kernelINS1_36wrapped_radix_sort_block_sort_configINS0_13kernel_configILj256ELj4ELj4294967295EEEiN2at4cuda3cub6detail10OpaqueTypeILi4EEEEELb0EPKiPiPKSB_PSB_NS0_19identity_decomposerEEEvT1_T2_T3_T4_jT5_jj,@function
_ZN7rocprim17ROCPRIM_304000_NS6detail28radix_sort_block_sort_kernelINS1_36wrapped_radix_sort_block_sort_configINS0_13kernel_configILj256ELj4ELj4294967295EEEiN2at4cuda3cub6detail10OpaqueTypeILi4EEEEELb0EPKiPiPKSB_PSB_NS0_19identity_decomposerEEEvT1_T2_T3_T4_jT5_jj: ; @_ZN7rocprim17ROCPRIM_304000_NS6detail28radix_sort_block_sort_kernelINS1_36wrapped_radix_sort_block_sort_configINS0_13kernel_configILj256ELj4ELj4294967295EEEiN2at4cuda3cub6detail10OpaqueTypeILi4EEEEELb0EPKiPiPKSB_PSB_NS0_19identity_decomposerEEEvT1_T2_T3_T4_jT5_jj
; %bb.0:
	s_load_dword s7, s[4:5], 0x20
	s_load_dwordx8 s[36:43], s[4:5], 0x0
	s_lshl_b32 s0, s6, 10
	s_mov_b32 s1, 0
	v_mbcnt_lo_u32_b32 v3, -1, 0
	s_waitcnt lgkmcnt(0)
	s_lshr_b32 s2, s7, 10
	s_cmp_lg_u32 s6, s2
	s_cselect_b64 s[30:31], -1, 0
	s_lshl_b64 s[28:29], s[0:1], 2
	s_add_u32 s1, s36, s28
	v_mbcnt_hi_u32_b32 v9, -1, v3
	s_addc_u32 s3, s37, s29
	v_lshlrev_b32_e32 v17, 2, v0
	v_lshlrev_b32_e32 v14, 2, v9
	v_and_b32_e32 v15, 0x300, v17
	v_mov_b32_e32 v3, s3
	v_add_co_u32_e32 v4, vcc, s1, v14
	v_addc_co_u32_e32 v3, vcc, 0, v3, vcc
	v_lshlrev_b32_e32 v10, 2, v15
	v_add_co_u32_e32 v7, vcc, v4, v10
	s_cmp_eq_u32 s6, s2
	v_addc_co_u32_e32 v8, vcc, 0, v3, vcc
	s_cbranch_scc1 .LBB16_2
; %bb.1:
	s_add_u32 s1, s40, s28
	s_addc_u32 s2, s41, s29
	v_mov_b32_e32 v11, s2
	v_add_co_u32_e32 v12, vcc, s1, v14
	v_addc_co_u32_e32 v11, vcc, 0, v11, vcc
	v_add_co_u32_e32 v18, vcc, v12, v10
	global_load_dword v3, v[7:8], off
	global_load_dword v4, v[7:8], off offset:256
	global_load_dword v5, v[7:8], off offset:512
	;; [unrolled: 1-line block ×3, first 2 shown]
	v_addc_co_u32_e32 v19, vcc, 0, v11, vcc
	global_load_dword v11, v[18:19], off
	global_load_dword v12, v[18:19], off offset:256
	global_load_dword v13, v[18:19], off offset:512
	s_mov_b64 s[8:9], -1
	s_sub_i32 s33, s7, s0
	s_cbranch_execz .LBB16_3
	s_branch .LBB16_16
.LBB16_2:
	s_mov_b64 s[8:9], 0
                                        ; implicit-def: $vgpr3_vgpr4_vgpr5_vgpr6
                                        ; implicit-def: $vgpr11
                                        ; implicit-def: $vgpr13
	s_sub_i32 s33, s7, s0
.LBB16_3:
	s_waitcnt vmcnt(2)
	v_add_u32_e32 v11, v9, v15
	v_bfrev_b32_e32 v3, -2
	v_cmp_gt_u32_e32 vcc, s33, v11
	v_mov_b32_e32 v4, v3
	v_mov_b32_e32 v5, v3
	;; [unrolled: 1-line block ×3, first 2 shown]
	s_and_saveexec_b64 s[0:1], vcc
	s_cbranch_execz .LBB16_5
; %bb.4:
	global_load_dword v18, v[7:8], off
	v_mov_b32_e32 v19, v3
	v_mov_b32_e32 v20, v3
	;; [unrolled: 1-line block ×3, first 2 shown]
	s_waitcnt vmcnt(0)
	v_mov_b32_e32 v3, v18
	v_mov_b32_e32 v4, v19
	v_mov_b32_e32 v5, v20
	v_mov_b32_e32 v6, v21
.LBB16_5:
	s_or_b64 exec, exec, s[0:1]
	s_waitcnt vmcnt(1)
	v_add_u32_e32 v12, 64, v11
	v_cmp_gt_u32_e64 s[0:1], s33, v12
	s_and_saveexec_b64 s[2:3], s[0:1]
	s_cbranch_execz .LBB16_7
; %bb.6:
	global_load_dword v4, v[7:8], off offset:256
.LBB16_7:
	s_or_b64 exec, exec, s[2:3]
	v_add_u32_e32 v12, 0x80, v11
	v_cmp_gt_u32_e64 s[2:3], s33, v12
	s_and_saveexec_b64 s[6:7], s[2:3]
	s_cbranch_execz .LBB16_9
; %bb.8:
	global_load_dword v5, v[7:8], off offset:512
.LBB16_9:
	s_or_b64 exec, exec, s[6:7]
	;; [unrolled: 8-line block ×3, first 2 shown]
	s_add_u32 s6, s40, s28
	s_addc_u32 s7, s41, s29
	v_mov_b32_e32 v7, s7
	v_add_co_u32_e64 v8, s[6:7], s6, v14
	v_addc_co_u32_e64 v11, s[6:7], 0, v7, s[6:7]
	v_add_co_u32_e64 v7, s[6:7], v8, v10
	v_addc_co_u32_e64 v8, s[6:7], 0, v11, s[6:7]
                                        ; implicit-def: $vgpr11
	s_and_saveexec_b64 s[6:7], vcc
	s_cbranch_execnz .LBB16_55
; %bb.12:
	s_or_b64 exec, exec, s[6:7]
	s_and_saveexec_b64 s[6:7], s[0:1]
	s_cbranch_execnz .LBB16_56
.LBB16_13:
	s_or_b64 exec, exec, s[6:7]
                                        ; implicit-def: $vgpr13
	s_and_saveexec_b64 s[0:1], s[2:3]
	s_cbranch_execz .LBB16_15
.LBB16_14:
	global_load_dword v13, v[7:8], off offset:512
.LBB16_15:
	s_or_b64 exec, exec, s[0:1]
.LBB16_16:
	s_and_saveexec_b64 s[0:1], s[8:9]
	s_cbranch_execz .LBB16_18
; %bb.17:
	s_add_u32 s2, s40, s28
	s_addc_u32 s3, s41, s29
	v_mov_b32_e32 v7, s3
	v_add_co_u32_e32 v8, vcc, s2, v14
	v_addc_co_u32_e32 v14, vcc, 0, v7, vcc
	v_add_co_u32_e32 v7, vcc, v8, v10
	v_addc_co_u32_e32 v8, vcc, 0, v14, vcc
	global_load_dword v14, v[7:8], off offset:768
.LBB16_18:
	s_or_b64 exec, exec, s[0:1]
	s_load_dwordx2 s[34:35], s[4:5], 0x28
	s_load_dword s0, s[4:5], 0x3c
	s_mov_b32 s26, 0
	s_mov_b32 s40, s26
	;; [unrolled: 1-line block ×4, first 2 shown]
	s_waitcnt lgkmcnt(0)
	s_lshr_b32 s1, s0, 16
	s_and_b32 s0, s0, 0xffff
	v_mad_u32_u24 v1, v2, s1, v1
	v_mad_u64_u32 v[7:8], s[0:1], v1, s0, v[0:1]
	s_waitcnt vmcnt(0)
	v_xor_b32_e32 v1, 0x80000000, v5
	v_xor_b32_e32 v2, 0x80000000, v6
	v_lshrrev_b32_e32 v5, 4, v7
	v_and_b32_e32 v19, 0xffffffc, v5
	v_and_b32_e32 v5, 15, v9
	v_cmp_eq_u32_e64 s[0:1], 0, v5
	v_cmp_lt_u32_e64 s[2:3], 1, v5
	v_cmp_lt_u32_e64 s[4:5], 3, v5
	;; [unrolled: 1-line block ×3, first 2 shown]
	v_and_b32_e32 v5, 16, v9
	v_cmp_eq_u32_e64 s[8:9], 0, v5
	v_or_b32_e32 v5, 63, v0
	v_cmp_eq_u32_e64 s[12:13], v0, v5
	v_subrev_co_u32_e64 v5, s[18:19], 1, v9
	v_and_b32_e32 v6, 64, v9
	v_cmp_lt_i32_e32 vcc, v5, v6
	v_cndmask_b32_e32 v5, v5, v9, vcc
	v_lshlrev_b32_e32 v21, 2, v5
	v_lshrrev_b32_e32 v5, 4, v0
	v_and_b32_e32 v22, 12, v5
	v_and_b32_e32 v5, 3, v9
	v_cmp_eq_u32_e64 s[22:23], 0, v5
	v_cmp_lt_u32_e64 s[24:25], 1, v5
	v_mov_b32_e32 v5, s26
	v_mov_b32_e32 v7, s40
	v_xor_b32_e32 v3, 0x80000000, v3
	v_xor_b32_e32 v4, 0x80000000, v4
	s_add_i32 s36, s35, s34
	v_lshlrev_b32_e32 v18, 2, v17
	v_cmp_lt_u32_e64 s[10:11], 31, v9
	v_cmp_gt_u32_e64 s[14:15], 4, v0
	v_cmp_lt_u32_e64 s[16:17], 63, v0
	v_cmp_eq_u32_e64 s[20:21], 0, v0
	v_mul_i32_i24_e32 v20, -12, v0
	v_lshl_add_u32 v23, v9, 2, v10
	v_mov_b32_e32 v6, s27
	v_mov_b32_e32 v8, s41
	;; [unrolled: 1-line block ×3, first 2 shown]
	s_branch .LBB16_20
.LBB16_19:                              ;   in Loop: Header=BB16_20 Depth=1
	s_andn2_b64 vcc, exec, s[26:27]
	s_mov_b32 s35, s37
	s_cbranch_vccz .LBB16_36
.LBB16_20:                              ; =>This Inner Loop Header: Depth=1
	s_min_u32 s26, s35, 8
	v_mov_b32_e32 v24, v3
	s_lshl_b32 s26, -1, s26
	s_not_b32 s37, s26
	v_lshrrev_b32_e32 v3, s34, v24
	v_and_b32_e32 v3, s37, v3
	v_and_b32_e32 v10, 1, v3
	v_add_co_u32_e64 v15, s[26:27], -1, v10
	v_cmp_ne_u32_e32 vcc, 0, v10
	v_addc_co_u32_e64 v10, s[26:27], 0, -1, s[26:27]
	v_xor_b32_e32 v10, vcc_hi, v10
	v_and_b32_e32 v16, exec_hi, v10
	v_lshlrev_b32_e32 v10, 30, v3
	v_cmp_gt_i64_e64 s[26:27], 0, v[9:10]
	v_not_b32_e32 v10, v10
	v_ashrrev_i32_e32 v10, 31, v10
	v_xor_b32_e32 v15, vcc_lo, v15
	v_xor_b32_e32 v25, s27, v10
	v_and_b32_e32 v15, exec_lo, v15
	v_xor_b32_e32 v10, s26, v10
	v_and_b32_e32 v15, v15, v10
	v_lshlrev_b32_e32 v10, 29, v3
	v_cmp_gt_i64_e32 vcc, 0, v[9:10]
	v_not_b32_e32 v10, v10
	v_ashrrev_i32_e32 v10, 31, v10
	v_and_b32_e32 v16, v16, v25
	v_xor_b32_e32 v25, vcc_hi, v10
	v_xor_b32_e32 v10, vcc_lo, v10
	v_and_b32_e32 v15, v15, v10
	v_lshlrev_b32_e32 v10, 28, v3
	v_cmp_gt_i64_e32 vcc, 0, v[9:10]
	v_not_b32_e32 v10, v10
	v_ashrrev_i32_e32 v10, 31, v10
	v_and_b32_e32 v16, v16, v25
	v_xor_b32_e32 v25, vcc_hi, v10
	v_xor_b32_e32 v10, vcc_lo, v10
	;; [unrolled: 8-line block ×6, first 2 shown]
	v_and_b32_e32 v15, v15, v10
	v_and_b32_e32 v16, v16, v25
	v_mov_b32_e32 v29, v2
	v_mbcnt_lo_u32_b32 v2, v15, 0
	v_mov_b32_e32 v28, v11
	v_mbcnt_hi_u32_b32 v11, v16, v2
	v_cmp_ne_u64_e32 vcc, 0, v[15:16]
	v_mov_b32_e32 v30, v1
	v_lshlrev_b32_e32 v1, 4, v3
	v_cmp_eq_u32_e64 s[26:27], 0, v11
	v_mov_b32_e32 v31, v4
	v_mov_b32_e32 v27, v12
	;; [unrolled: 1-line block ×4, first 2 shown]
	s_and_b64 s[40:41], vcc, s[26:27]
	v_add_u32_e32 v12, v19, v1
	ds_write2_b64 v18, v[5:6], v[7:8] offset0:2 offset1:3
	s_waitcnt lgkmcnt(0)
	s_barrier
	; wave barrier
	s_and_saveexec_b64 s[26:27], s[40:41]
; %bb.21:                               ;   in Loop: Header=BB16_20 Depth=1
	v_bcnt_u32_b32 v1, v15, 0
	v_bcnt_u32_b32 v1, v16, v1
	ds_write_b32 v12, v1 offset:16
; %bb.22:                               ;   in Loop: Header=BB16_20 Depth=1
	s_or_b64 exec, exec, s[26:27]
	v_lshrrev_b32_e32 v1, s34, v31
	v_and_b32_e32 v1, s37, v1
	v_lshlrev_b32_e32 v2, 4, v1
	v_add_u32_e32 v14, v19, v2
	v_and_b32_e32 v2, 1, v1
	v_add_co_u32_e32 v3, vcc, -1, v2
	v_addc_co_u32_e64 v4, s[26:27], 0, -1, vcc
	v_cmp_ne_u32_e32 vcc, 0, v2
	v_lshlrev_b32_e32 v10, 30, v1
	v_xor_b32_e32 v2, vcc_hi, v4
	v_xor_b32_e32 v3, vcc_lo, v3
	v_cmp_gt_i64_e32 vcc, 0, v[9:10]
	v_not_b32_e32 v4, v10
	v_ashrrev_i32_e32 v4, 31, v4
	v_and_b32_e32 v2, exec_hi, v2
	v_xor_b32_e32 v10, vcc_hi, v4
	v_and_b32_e32 v3, exec_lo, v3
	v_xor_b32_e32 v4, vcc_lo, v4
	v_and_b32_e32 v2, v2, v10
	v_lshlrev_b32_e32 v10, 29, v1
	v_and_b32_e32 v3, v3, v4
	v_cmp_gt_i64_e32 vcc, 0, v[9:10]
	v_not_b32_e32 v4, v10
	v_ashrrev_i32_e32 v4, 31, v4
	v_xor_b32_e32 v10, vcc_hi, v4
	v_xor_b32_e32 v4, vcc_lo, v4
	v_and_b32_e32 v2, v2, v10
	v_lshlrev_b32_e32 v10, 28, v1
	v_and_b32_e32 v3, v3, v4
	v_cmp_gt_i64_e32 vcc, 0, v[9:10]
	v_not_b32_e32 v4, v10
	v_ashrrev_i32_e32 v4, 31, v4
	v_xor_b32_e32 v10, vcc_hi, v4
	;; [unrolled: 8-line block ×5, first 2 shown]
	v_and_b32_e32 v2, v2, v10
	v_lshlrev_b32_e32 v10, 24, v1
	v_xor_b32_e32 v4, vcc_lo, v4
	v_cmp_gt_i64_e32 vcc, 0, v[9:10]
	v_not_b32_e32 v1, v10
	v_ashrrev_i32_e32 v1, 31, v1
	v_and_b32_e32 v3, v3, v4
	v_xor_b32_e32 v4, vcc_hi, v1
	v_xor_b32_e32 v1, vcc_lo, v1
	; wave barrier
	ds_read_b32 v13, v14 offset:16
	v_and_b32_e32 v1, v3, v1
	v_and_b32_e32 v2, v2, v4
	v_mbcnt_lo_u32_b32 v3, v1, 0
	v_mbcnt_hi_u32_b32 v15, v2, v3
	v_cmp_ne_u64_e32 vcc, 0, v[1:2]
	v_cmp_eq_u32_e64 s[26:27], 0, v15
	s_and_b64 s[40:41], vcc, s[26:27]
	; wave barrier
	s_and_saveexec_b64 s[26:27], s[40:41]
	s_cbranch_execz .LBB16_24
; %bb.23:                               ;   in Loop: Header=BB16_20 Depth=1
	v_bcnt_u32_b32 v1, v1, 0
	v_bcnt_u32_b32 v1, v2, v1
	s_waitcnt lgkmcnt(0)
	v_add_u32_e32 v1, v13, v1
	ds_write_b32 v14, v1 offset:16
.LBB16_24:                              ;   in Loop: Header=BB16_20 Depth=1
	s_or_b64 exec, exec, s[26:27]
	v_lshrrev_b32_e32 v1, s34, v30
	v_and_b32_e32 v1, s37, v1
	v_lshlrev_b32_e32 v2, 4, v1
	v_add_u32_e32 v32, v19, v2
	v_and_b32_e32 v2, 1, v1
	v_add_co_u32_e32 v3, vcc, -1, v2
	v_addc_co_u32_e64 v4, s[26:27], 0, -1, vcc
	v_cmp_ne_u32_e32 vcc, 0, v2
	v_lshlrev_b32_e32 v10, 30, v1
	v_xor_b32_e32 v2, vcc_hi, v4
	v_xor_b32_e32 v3, vcc_lo, v3
	v_cmp_gt_i64_e32 vcc, 0, v[9:10]
	v_not_b32_e32 v4, v10
	v_ashrrev_i32_e32 v4, 31, v4
	v_and_b32_e32 v2, exec_hi, v2
	v_xor_b32_e32 v10, vcc_hi, v4
	v_and_b32_e32 v3, exec_lo, v3
	v_xor_b32_e32 v4, vcc_lo, v4
	v_and_b32_e32 v2, v2, v10
	v_lshlrev_b32_e32 v10, 29, v1
	v_and_b32_e32 v3, v3, v4
	v_cmp_gt_i64_e32 vcc, 0, v[9:10]
	v_not_b32_e32 v4, v10
	v_ashrrev_i32_e32 v4, 31, v4
	v_xor_b32_e32 v10, vcc_hi, v4
	v_xor_b32_e32 v4, vcc_lo, v4
	v_and_b32_e32 v2, v2, v10
	v_lshlrev_b32_e32 v10, 28, v1
	v_and_b32_e32 v3, v3, v4
	v_cmp_gt_i64_e32 vcc, 0, v[9:10]
	v_not_b32_e32 v4, v10
	v_ashrrev_i32_e32 v4, 31, v4
	v_xor_b32_e32 v10, vcc_hi, v4
	;; [unrolled: 8-line block ×5, first 2 shown]
	v_and_b32_e32 v2, v2, v10
	v_lshlrev_b32_e32 v10, 24, v1
	v_xor_b32_e32 v4, vcc_lo, v4
	v_cmp_gt_i64_e32 vcc, 0, v[9:10]
	v_not_b32_e32 v1, v10
	v_ashrrev_i32_e32 v1, 31, v1
	v_and_b32_e32 v3, v3, v4
	v_xor_b32_e32 v4, vcc_hi, v1
	v_xor_b32_e32 v1, vcc_lo, v1
	; wave barrier
	ds_read_b32 v16, v32 offset:16
	v_and_b32_e32 v1, v3, v1
	v_and_b32_e32 v2, v2, v4
	v_mbcnt_lo_u32_b32 v3, v1, 0
	v_mbcnt_hi_u32_b32 v33, v2, v3
	v_cmp_ne_u64_e32 vcc, 0, v[1:2]
	v_cmp_eq_u32_e64 s[26:27], 0, v33
	s_and_b64 s[40:41], vcc, s[26:27]
	; wave barrier
	s_and_saveexec_b64 s[26:27], s[40:41]
	s_cbranch_execz .LBB16_26
; %bb.25:                               ;   in Loop: Header=BB16_20 Depth=1
	v_bcnt_u32_b32 v1, v1, 0
	v_bcnt_u32_b32 v1, v2, v1
	s_waitcnt lgkmcnt(0)
	v_add_u32_e32 v1, v16, v1
	ds_write_b32 v32, v1 offset:16
.LBB16_26:                              ;   in Loop: Header=BB16_20 Depth=1
	s_or_b64 exec, exec, s[26:27]
	v_lshrrev_b32_e32 v1, s34, v29
	v_and_b32_e32 v1, s37, v1
	v_lshlrev_b32_e32 v2, 4, v1
	v_add_u32_e32 v35, v19, v2
	v_and_b32_e32 v2, 1, v1
	v_add_co_u32_e32 v3, vcc, -1, v2
	v_addc_co_u32_e64 v4, s[26:27], 0, -1, vcc
	v_cmp_ne_u32_e32 vcc, 0, v2
	v_lshlrev_b32_e32 v10, 30, v1
	v_xor_b32_e32 v2, vcc_hi, v4
	v_xor_b32_e32 v3, vcc_lo, v3
	v_cmp_gt_i64_e32 vcc, 0, v[9:10]
	v_not_b32_e32 v4, v10
	v_ashrrev_i32_e32 v4, 31, v4
	v_and_b32_e32 v2, exec_hi, v2
	v_xor_b32_e32 v10, vcc_hi, v4
	v_and_b32_e32 v3, exec_lo, v3
	v_xor_b32_e32 v4, vcc_lo, v4
	v_and_b32_e32 v2, v2, v10
	v_lshlrev_b32_e32 v10, 29, v1
	v_and_b32_e32 v3, v3, v4
	v_cmp_gt_i64_e32 vcc, 0, v[9:10]
	v_not_b32_e32 v4, v10
	v_ashrrev_i32_e32 v4, 31, v4
	v_xor_b32_e32 v10, vcc_hi, v4
	v_xor_b32_e32 v4, vcc_lo, v4
	v_and_b32_e32 v2, v2, v10
	v_lshlrev_b32_e32 v10, 28, v1
	v_and_b32_e32 v3, v3, v4
	v_cmp_gt_i64_e32 vcc, 0, v[9:10]
	v_not_b32_e32 v4, v10
	v_ashrrev_i32_e32 v4, 31, v4
	v_xor_b32_e32 v10, vcc_hi, v4
	;; [unrolled: 8-line block ×5, first 2 shown]
	v_and_b32_e32 v2, v2, v10
	v_lshlrev_b32_e32 v10, 24, v1
	v_xor_b32_e32 v4, vcc_lo, v4
	v_cmp_gt_i64_e32 vcc, 0, v[9:10]
	v_not_b32_e32 v1, v10
	v_ashrrev_i32_e32 v1, 31, v1
	v_and_b32_e32 v3, v3, v4
	v_xor_b32_e32 v4, vcc_hi, v1
	v_xor_b32_e32 v1, vcc_lo, v1
	; wave barrier
	ds_read_b32 v34, v35 offset:16
	v_and_b32_e32 v1, v3, v1
	v_and_b32_e32 v2, v2, v4
	v_mbcnt_lo_u32_b32 v3, v1, 0
	v_mbcnt_hi_u32_b32 v10, v2, v3
	v_cmp_ne_u64_e32 vcc, 0, v[1:2]
	v_cmp_eq_u32_e64 s[26:27], 0, v10
	s_and_b64 s[40:41], vcc, s[26:27]
	; wave barrier
	s_and_saveexec_b64 s[26:27], s[40:41]
	s_cbranch_execz .LBB16_28
; %bb.27:                               ;   in Loop: Header=BB16_20 Depth=1
	v_bcnt_u32_b32 v1, v1, 0
	v_bcnt_u32_b32 v1, v2, v1
	s_waitcnt lgkmcnt(0)
	v_add_u32_e32 v1, v34, v1
	ds_write_b32 v35, v1 offset:16
.LBB16_28:                              ;   in Loop: Header=BB16_20 Depth=1
	s_or_b64 exec, exec, s[26:27]
	; wave barrier
	s_waitcnt lgkmcnt(0)
	s_barrier
	ds_read2_b64 v[1:4], v18 offset0:2 offset1:3
	s_waitcnt lgkmcnt(0)
	v_add_u32_e32 v36, v2, v1
	v_add3_u32 v4, v36, v3, v4
	s_nop 1
	v_mov_b32_dpp v36, v4 row_shr:1 row_mask:0xf bank_mask:0xf
	v_cndmask_b32_e64 v36, v36, 0, s[0:1]
	v_add_u32_e32 v4, v36, v4
	s_nop 1
	v_mov_b32_dpp v36, v4 row_shr:2 row_mask:0xf bank_mask:0xf
	v_cndmask_b32_e64 v36, 0, v36, s[2:3]
	v_add_u32_e32 v4, v4, v36
	;; [unrolled: 4-line block ×4, first 2 shown]
	s_nop 1
	v_mov_b32_dpp v36, v4 row_bcast:15 row_mask:0xf bank_mask:0xf
	v_cndmask_b32_e64 v36, v36, 0, s[8:9]
	v_add_u32_e32 v4, v4, v36
	s_nop 1
	v_mov_b32_dpp v36, v4 row_bcast:31 row_mask:0xf bank_mask:0xf
	v_cndmask_b32_e64 v36, 0, v36, s[10:11]
	v_add_u32_e32 v4, v4, v36
	s_and_saveexec_b64 s[26:27], s[12:13]
; %bb.29:                               ;   in Loop: Header=BB16_20 Depth=1
	ds_write_b32 v22, v4
; %bb.30:                               ;   in Loop: Header=BB16_20 Depth=1
	s_or_b64 exec, exec, s[26:27]
	s_waitcnt lgkmcnt(0)
	s_barrier
	s_and_saveexec_b64 s[26:27], s[14:15]
	s_cbranch_execz .LBB16_32
; %bb.31:                               ;   in Loop: Header=BB16_20 Depth=1
	v_add_u32_e32 v36, v18, v20
	ds_read_b32 v37, v36
	s_waitcnt lgkmcnt(0)
	s_nop 0
	v_mov_b32_dpp v38, v37 row_shr:1 row_mask:0xf bank_mask:0xf
	v_cndmask_b32_e64 v38, v38, 0, s[22:23]
	v_add_u32_e32 v37, v38, v37
	s_nop 1
	v_mov_b32_dpp v38, v37 row_shr:2 row_mask:0xf bank_mask:0xf
	v_cndmask_b32_e64 v38, 0, v38, s[24:25]
	v_add_u32_e32 v37, v37, v38
	ds_write_b32 v36, v37
.LBB16_32:                              ;   in Loop: Header=BB16_20 Depth=1
	s_or_b64 exec, exec, s[26:27]
	v_mov_b32_e32 v36, 0
	s_waitcnt lgkmcnt(0)
	s_barrier
	s_and_saveexec_b64 s[26:27], s[16:17]
; %bb.33:                               ;   in Loop: Header=BB16_20 Depth=1
	v_add_u32_e32 v36, -4, v22
	ds_read_b32 v36, v36
; %bb.34:                               ;   in Loop: Header=BB16_20 Depth=1
	s_or_b64 exec, exec, s[26:27]
	s_waitcnt lgkmcnt(0)
	v_add_u32_e32 v4, v36, v4
	ds_bpermute_b32 v4, v21, v4
	v_lshlrev_b32_e32 v11, 2, v11
	s_add_i32 s34, s34, 8
	s_cmp_ge_u32 s34, s36
	s_mov_b64 s[26:27], -1
	s_waitcnt lgkmcnt(0)
	v_cndmask_b32_e64 v4, v4, v36, s[18:19]
	v_cndmask_b32_e64 v36, v4, 0, s[20:21]
	v_add_u32_e32 v37, v36, v1
	v_add_u32_e32 v1, v37, v2
	;; [unrolled: 1-line block ×3, first 2 shown]
	ds_write2_b64 v18, v[36:37], v[1:2] offset0:2 offset1:3
	s_waitcnt lgkmcnt(0)
	s_barrier
	ds_read_b32 v1, v12 offset:16
	ds_read_b32 v2, v14 offset:16
	;; [unrolled: 1-line block ×4, first 2 shown]
	v_readfirstlane_b32 s37, v0
	s_waitcnt lgkmcnt(3)
	v_lshl_add_u32 v32, v1, 2, v11
	v_lshlrev_b32_e32 v1, 2, v15
	v_lshlrev_b32_e32 v11, 2, v13
	s_waitcnt lgkmcnt(2)
	v_lshlrev_b32_e32 v2, 2, v2
	v_add3_u32 v15, v1, v11, v2
	v_lshlrev_b32_e32 v1, 2, v33
	v_lshlrev_b32_e32 v2, 2, v16
	s_waitcnt lgkmcnt(1)
	v_lshlrev_b32_e32 v3, 2, v3
	v_add3_u32 v16, v1, v2, v3
	;; [unrolled: 5-line block ×3, first 2 shown]
                                        ; implicit-def: $vgpr2
                                        ; implicit-def: $vgpr4
                                        ; implicit-def: $vgpr11
                                        ; implicit-def: $vgpr13
	s_cbranch_scc1 .LBB16_19
; %bb.35:                               ;   in Loop: Header=BB16_20 Depth=1
	s_barrier
	ds_write_b32 v32, v24
	ds_write_b32 v15, v31
	;; [unrolled: 1-line block ×4, first 2 shown]
	s_waitcnt lgkmcnt(0)
	s_barrier
	ds_read2st64_b32 v[3:4], v23 offset1:1
	ds_read2st64_b32 v[1:2], v23 offset0:2 offset1:3
	s_waitcnt lgkmcnt(0)
	s_barrier
	ds_write_b32 v32, v28
	ds_write_b32 v15, v27
	;; [unrolled: 1-line block ×4, first 2 shown]
	s_waitcnt lgkmcnt(0)
	s_barrier
	ds_read2st64_b32 v[11:12], v23 offset1:1
	ds_read2st64_b32 v[13:14], v23 offset0:2 offset1:3
	s_add_i32 s37, s35, -8
	s_mov_b64 s[26:27], 0
	s_waitcnt lgkmcnt(0)
	s_barrier
	s_branch .LBB16_19
.LBB16_36:
	v_add_u32_e32 v1, v18, v20
	s_barrier
	ds_write_b32 v32, v24
	ds_write_b32 v15, v31
	;; [unrolled: 1-line block ×4, first 2 shown]
	s_waitcnt lgkmcnt(0)
	s_barrier
	ds_read2st64_b32 v[5:6], v1 offset1:4
	ds_read2st64_b32 v[11:12], v1 offset0:8 offset1:12
	s_waitcnt lgkmcnt(0)
	s_barrier
	ds_write_b32 v32, v28
	ds_write_b32 v15, v27
	;; [unrolled: 1-line block ×4, first 2 shown]
	s_waitcnt lgkmcnt(0)
	s_barrier
	ds_read2st64_b32 v[3:4], v1 offset1:4
	ds_read2st64_b32 v[1:2], v1 offset0:8 offset1:12
	s_add_u32 s0, s38, s28
	s_addc_u32 s1, s39, s29
	v_xor_b32_e32 v10, 0x80000000, v5
	v_xor_b32_e32 v9, 0x80000000, v6
	v_mov_b32_e32 v6, s1
	v_add_co_u32_e64 v5, s[0:1], s0, v17
	v_xor_b32_e32 v8, 0x80000000, v11
	v_xor_b32_e32 v7, 0x80000000, v12
	s_andn2_b64 vcc, exec, s[30:31]
	v_addc_co_u32_e64 v6, s[0:1], 0, v6, s[0:1]
	s_cbranch_vccnz .LBB16_38
; %bb.37:
	s_add_u32 s0, s42, s28
	s_addc_u32 s1, s43, s29
	global_store_dword v[5:6], v10, off
	global_store_dword v[5:6], v9, off offset:1024
	global_store_dword v[5:6], v8, off offset:2048
	;; [unrolled: 1-line block ×3, first 2 shown]
	s_waitcnt lgkmcnt(1)
	global_store_dword v17, v3, s[0:1]
	global_store_dword v17, v4, s[0:1] offset:1024
	s_waitcnt lgkmcnt(0)
	global_store_dword v17, v1, s[0:1] offset:2048
	s_mov_b64 s[6:7], -1
	s_cbranch_execz .LBB16_39
	s_branch .LBB16_52
.LBB16_38:
	s_mov_b64 s[6:7], 0
.LBB16_39:
	v_cmp_gt_u32_e32 vcc, s33, v0
	s_and_saveexec_b64 s[0:1], vcc
	s_cbranch_execz .LBB16_41
; %bb.40:
	global_store_dword v[5:6], v10, off
.LBB16_41:
	s_or_b64 exec, exec, s[0:1]
	v_or_b32_e32 v10, 0x100, v0
	v_cmp_gt_u32_e64 s[0:1], s33, v10
	s_and_saveexec_b64 s[2:3], s[0:1]
	s_cbranch_execz .LBB16_43
; %bb.42:
	global_store_dword v[5:6], v9, off offset:1024
.LBB16_43:
	s_or_b64 exec, exec, s[2:3]
	v_or_b32_e32 v9, 0x200, v0
	v_cmp_gt_u32_e64 s[2:3], s33, v9
	s_and_saveexec_b64 s[4:5], s[2:3]
	s_cbranch_execz .LBB16_45
; %bb.44:
	global_store_dword v[5:6], v8, off offset:2048
.LBB16_45:
	;; [unrolled: 8-line block ×3, first 2 shown]
	s_or_b64 exec, exec, s[4:5]
	s_add_u32 s4, s42, s28
	s_addc_u32 s5, s43, s29
	v_mov_b32_e32 v0, s5
	v_add_co_u32_e64 v5, s[4:5], s4, v17
	v_addc_co_u32_e64 v6, s[4:5], 0, v0, s[4:5]
	s_and_saveexec_b64 s[4:5], vcc
	s_cbranch_execnz .LBB16_57
; %bb.48:
	s_or_b64 exec, exec, s[4:5]
	s_and_saveexec_b64 s[4:5], s[0:1]
	s_cbranch_execnz .LBB16_58
.LBB16_49:
	s_or_b64 exec, exec, s[4:5]
	s_and_saveexec_b64 s[0:1], s[2:3]
	s_cbranch_execz .LBB16_51
.LBB16_50:
	s_waitcnt lgkmcnt(0)
	global_store_dword v[5:6], v1, off offset:2048
.LBB16_51:
	s_or_b64 exec, exec, s[0:1]
.LBB16_52:
	s_and_saveexec_b64 s[0:1], s[6:7]
	s_cbranch_execnz .LBB16_54
; %bb.53:
	s_endpgm
.LBB16_54:
	s_add_u32 s0, s42, s28
	s_addc_u32 s1, s43, s29
	s_waitcnt lgkmcnt(0)
	global_store_dword v17, v2, s[0:1] offset:3072
	s_endpgm
.LBB16_55:
	global_load_dword v11, v[7:8], off
	s_or_b64 exec, exec, s[6:7]
	s_and_saveexec_b64 s[6:7], s[0:1]
	s_cbranch_execz .LBB16_13
.LBB16_56:
	global_load_dword v12, v[7:8], off offset:256
	s_or_b64 exec, exec, s[6:7]
                                        ; implicit-def: $vgpr13
	s_and_saveexec_b64 s[0:1], s[2:3]
	s_cbranch_execnz .LBB16_14
	s_branch .LBB16_15
.LBB16_57:
	s_waitcnt lgkmcnt(1)
	global_store_dword v[5:6], v3, off
	s_or_b64 exec, exec, s[4:5]
	s_and_saveexec_b64 s[4:5], s[0:1]
	s_cbranch_execz .LBB16_49
.LBB16_58:
	s_waitcnt lgkmcnt(1)
	global_store_dword v[5:6], v4, off offset:1024
	s_or_b64 exec, exec, s[4:5]
	s_and_saveexec_b64 s[0:1], s[2:3]
	s_cbranch_execnz .LBB16_50
	s_branch .LBB16_51
	.section	.rodata,"a",@progbits
	.p2align	6, 0x0
	.amdhsa_kernel _ZN7rocprim17ROCPRIM_304000_NS6detail28radix_sort_block_sort_kernelINS1_36wrapped_radix_sort_block_sort_configINS0_13kernel_configILj256ELj4ELj4294967295EEEiN2at4cuda3cub6detail10OpaqueTypeILi4EEEEELb0EPKiPiPKSB_PSB_NS0_19identity_decomposerEEEvT1_T2_T3_T4_jT5_jj
		.amdhsa_group_segment_fixed_size 4112
		.amdhsa_private_segment_fixed_size 0
		.amdhsa_kernarg_size 304
		.amdhsa_user_sgpr_count 6
		.amdhsa_user_sgpr_private_segment_buffer 1
		.amdhsa_user_sgpr_dispatch_ptr 0
		.amdhsa_user_sgpr_queue_ptr 0
		.amdhsa_user_sgpr_kernarg_segment_ptr 1
		.amdhsa_user_sgpr_dispatch_id 0
		.amdhsa_user_sgpr_flat_scratch_init 0
		.amdhsa_user_sgpr_private_segment_size 0
		.amdhsa_uses_dynamic_stack 0
		.amdhsa_system_sgpr_private_segment_wavefront_offset 0
		.amdhsa_system_sgpr_workgroup_id_x 1
		.amdhsa_system_sgpr_workgroup_id_y 0
		.amdhsa_system_sgpr_workgroup_id_z 0
		.amdhsa_system_sgpr_workgroup_info 0
		.amdhsa_system_vgpr_workitem_id 2
		.amdhsa_next_free_vgpr 39
		.amdhsa_next_free_sgpr 44
		.amdhsa_reserve_vcc 1
		.amdhsa_reserve_flat_scratch 0
		.amdhsa_float_round_mode_32 0
		.amdhsa_float_round_mode_16_64 0
		.amdhsa_float_denorm_mode_32 3
		.amdhsa_float_denorm_mode_16_64 3
		.amdhsa_dx10_clamp 1
		.amdhsa_ieee_mode 1
		.amdhsa_fp16_overflow 0
		.amdhsa_exception_fp_ieee_invalid_op 0
		.amdhsa_exception_fp_denorm_src 0
		.amdhsa_exception_fp_ieee_div_zero 0
		.amdhsa_exception_fp_ieee_overflow 0
		.amdhsa_exception_fp_ieee_underflow 0
		.amdhsa_exception_fp_ieee_inexact 0
		.amdhsa_exception_int_div_zero 0
	.end_amdhsa_kernel
	.section	.text._ZN7rocprim17ROCPRIM_304000_NS6detail28radix_sort_block_sort_kernelINS1_36wrapped_radix_sort_block_sort_configINS0_13kernel_configILj256ELj4ELj4294967295EEEiN2at4cuda3cub6detail10OpaqueTypeILi4EEEEELb0EPKiPiPKSB_PSB_NS0_19identity_decomposerEEEvT1_T2_T3_T4_jT5_jj,"axG",@progbits,_ZN7rocprim17ROCPRIM_304000_NS6detail28radix_sort_block_sort_kernelINS1_36wrapped_radix_sort_block_sort_configINS0_13kernel_configILj256ELj4ELj4294967295EEEiN2at4cuda3cub6detail10OpaqueTypeILi4EEEEELb0EPKiPiPKSB_PSB_NS0_19identity_decomposerEEEvT1_T2_T3_T4_jT5_jj,comdat
.Lfunc_end16:
	.size	_ZN7rocprim17ROCPRIM_304000_NS6detail28radix_sort_block_sort_kernelINS1_36wrapped_radix_sort_block_sort_configINS0_13kernel_configILj256ELj4ELj4294967295EEEiN2at4cuda3cub6detail10OpaqueTypeILi4EEEEELb0EPKiPiPKSB_PSB_NS0_19identity_decomposerEEEvT1_T2_T3_T4_jT5_jj, .Lfunc_end16-_ZN7rocprim17ROCPRIM_304000_NS6detail28radix_sort_block_sort_kernelINS1_36wrapped_radix_sort_block_sort_configINS0_13kernel_configILj256ELj4ELj4294967295EEEiN2at4cuda3cub6detail10OpaqueTypeILi4EEEEELb0EPKiPiPKSB_PSB_NS0_19identity_decomposerEEEvT1_T2_T3_T4_jT5_jj
                                        ; -- End function
	.set _ZN7rocprim17ROCPRIM_304000_NS6detail28radix_sort_block_sort_kernelINS1_36wrapped_radix_sort_block_sort_configINS0_13kernel_configILj256ELj4ELj4294967295EEEiN2at4cuda3cub6detail10OpaqueTypeILi4EEEEELb0EPKiPiPKSB_PSB_NS0_19identity_decomposerEEEvT1_T2_T3_T4_jT5_jj.num_vgpr, 39
	.set _ZN7rocprim17ROCPRIM_304000_NS6detail28radix_sort_block_sort_kernelINS1_36wrapped_radix_sort_block_sort_configINS0_13kernel_configILj256ELj4ELj4294967295EEEiN2at4cuda3cub6detail10OpaqueTypeILi4EEEEELb0EPKiPiPKSB_PSB_NS0_19identity_decomposerEEEvT1_T2_T3_T4_jT5_jj.num_agpr, 0
	.set _ZN7rocprim17ROCPRIM_304000_NS6detail28radix_sort_block_sort_kernelINS1_36wrapped_radix_sort_block_sort_configINS0_13kernel_configILj256ELj4ELj4294967295EEEiN2at4cuda3cub6detail10OpaqueTypeILi4EEEEELb0EPKiPiPKSB_PSB_NS0_19identity_decomposerEEEvT1_T2_T3_T4_jT5_jj.numbered_sgpr, 44
	.set _ZN7rocprim17ROCPRIM_304000_NS6detail28radix_sort_block_sort_kernelINS1_36wrapped_radix_sort_block_sort_configINS0_13kernel_configILj256ELj4ELj4294967295EEEiN2at4cuda3cub6detail10OpaqueTypeILi4EEEEELb0EPKiPiPKSB_PSB_NS0_19identity_decomposerEEEvT1_T2_T3_T4_jT5_jj.num_named_barrier, 0
	.set _ZN7rocprim17ROCPRIM_304000_NS6detail28radix_sort_block_sort_kernelINS1_36wrapped_radix_sort_block_sort_configINS0_13kernel_configILj256ELj4ELj4294967295EEEiN2at4cuda3cub6detail10OpaqueTypeILi4EEEEELb0EPKiPiPKSB_PSB_NS0_19identity_decomposerEEEvT1_T2_T3_T4_jT5_jj.private_seg_size, 0
	.set _ZN7rocprim17ROCPRIM_304000_NS6detail28radix_sort_block_sort_kernelINS1_36wrapped_radix_sort_block_sort_configINS0_13kernel_configILj256ELj4ELj4294967295EEEiN2at4cuda3cub6detail10OpaqueTypeILi4EEEEELb0EPKiPiPKSB_PSB_NS0_19identity_decomposerEEEvT1_T2_T3_T4_jT5_jj.uses_vcc, 1
	.set _ZN7rocprim17ROCPRIM_304000_NS6detail28radix_sort_block_sort_kernelINS1_36wrapped_radix_sort_block_sort_configINS0_13kernel_configILj256ELj4ELj4294967295EEEiN2at4cuda3cub6detail10OpaqueTypeILi4EEEEELb0EPKiPiPKSB_PSB_NS0_19identity_decomposerEEEvT1_T2_T3_T4_jT5_jj.uses_flat_scratch, 0
	.set _ZN7rocprim17ROCPRIM_304000_NS6detail28radix_sort_block_sort_kernelINS1_36wrapped_radix_sort_block_sort_configINS0_13kernel_configILj256ELj4ELj4294967295EEEiN2at4cuda3cub6detail10OpaqueTypeILi4EEEEELb0EPKiPiPKSB_PSB_NS0_19identity_decomposerEEEvT1_T2_T3_T4_jT5_jj.has_dyn_sized_stack, 0
	.set _ZN7rocprim17ROCPRIM_304000_NS6detail28radix_sort_block_sort_kernelINS1_36wrapped_radix_sort_block_sort_configINS0_13kernel_configILj256ELj4ELj4294967295EEEiN2at4cuda3cub6detail10OpaqueTypeILi4EEEEELb0EPKiPiPKSB_PSB_NS0_19identity_decomposerEEEvT1_T2_T3_T4_jT5_jj.has_recursion, 0
	.set _ZN7rocprim17ROCPRIM_304000_NS6detail28radix_sort_block_sort_kernelINS1_36wrapped_radix_sort_block_sort_configINS0_13kernel_configILj256ELj4ELj4294967295EEEiN2at4cuda3cub6detail10OpaqueTypeILi4EEEEELb0EPKiPiPKSB_PSB_NS0_19identity_decomposerEEEvT1_T2_T3_T4_jT5_jj.has_indirect_call, 0
	.section	.AMDGPU.csdata,"",@progbits
; Kernel info:
; codeLenInByte = 3636
; TotalNumSgprs: 48
; NumVgprs: 39
; ScratchSize: 0
; MemoryBound: 0
; FloatMode: 240
; IeeeMode: 1
; LDSByteSize: 4112 bytes/workgroup (compile time only)
; SGPRBlocks: 5
; VGPRBlocks: 9
; NumSGPRsForWavesPerEU: 48
; NumVGPRsForWavesPerEU: 39
; Occupancy: 6
; WaveLimiterHint : 1
; COMPUTE_PGM_RSRC2:SCRATCH_EN: 0
; COMPUTE_PGM_RSRC2:USER_SGPR: 6
; COMPUTE_PGM_RSRC2:TRAP_HANDLER: 0
; COMPUTE_PGM_RSRC2:TGID_X_EN: 1
; COMPUTE_PGM_RSRC2:TGID_Y_EN: 0
; COMPUTE_PGM_RSRC2:TGID_Z_EN: 0
; COMPUTE_PGM_RSRC2:TIDIG_COMP_CNT: 2
	.section	.text._ZN7rocprim17ROCPRIM_304000_NS6detail45device_block_merge_mergepath_partition_kernelINS1_37wrapped_merge_sort_block_merge_configINS0_14default_configEiN2at4cuda3cub6detail10OpaqueTypeILi4EEEEEPijNS1_19radix_merge_compareILb0ELb0EiNS0_19identity_decomposerEEEEEvT0_T1_jPSH_T2_SH_,"axG",@progbits,_ZN7rocprim17ROCPRIM_304000_NS6detail45device_block_merge_mergepath_partition_kernelINS1_37wrapped_merge_sort_block_merge_configINS0_14default_configEiN2at4cuda3cub6detail10OpaqueTypeILi4EEEEEPijNS1_19radix_merge_compareILb0ELb0EiNS0_19identity_decomposerEEEEEvT0_T1_jPSH_T2_SH_,comdat
	.protected	_ZN7rocprim17ROCPRIM_304000_NS6detail45device_block_merge_mergepath_partition_kernelINS1_37wrapped_merge_sort_block_merge_configINS0_14default_configEiN2at4cuda3cub6detail10OpaqueTypeILi4EEEEEPijNS1_19radix_merge_compareILb0ELb0EiNS0_19identity_decomposerEEEEEvT0_T1_jPSH_T2_SH_ ; -- Begin function _ZN7rocprim17ROCPRIM_304000_NS6detail45device_block_merge_mergepath_partition_kernelINS1_37wrapped_merge_sort_block_merge_configINS0_14default_configEiN2at4cuda3cub6detail10OpaqueTypeILi4EEEEEPijNS1_19radix_merge_compareILb0ELb0EiNS0_19identity_decomposerEEEEEvT0_T1_jPSH_T2_SH_
	.globl	_ZN7rocprim17ROCPRIM_304000_NS6detail45device_block_merge_mergepath_partition_kernelINS1_37wrapped_merge_sort_block_merge_configINS0_14default_configEiN2at4cuda3cub6detail10OpaqueTypeILi4EEEEEPijNS1_19radix_merge_compareILb0ELb0EiNS0_19identity_decomposerEEEEEvT0_T1_jPSH_T2_SH_
	.p2align	8
	.type	_ZN7rocprim17ROCPRIM_304000_NS6detail45device_block_merge_mergepath_partition_kernelINS1_37wrapped_merge_sort_block_merge_configINS0_14default_configEiN2at4cuda3cub6detail10OpaqueTypeILi4EEEEEPijNS1_19radix_merge_compareILb0ELb0EiNS0_19identity_decomposerEEEEEvT0_T1_jPSH_T2_SH_,@function
_ZN7rocprim17ROCPRIM_304000_NS6detail45device_block_merge_mergepath_partition_kernelINS1_37wrapped_merge_sort_block_merge_configINS0_14default_configEiN2at4cuda3cub6detail10OpaqueTypeILi4EEEEEPijNS1_19radix_merge_compareILb0ELb0EiNS0_19identity_decomposerEEEEEvT0_T1_jPSH_T2_SH_: ; @_ZN7rocprim17ROCPRIM_304000_NS6detail45device_block_merge_mergepath_partition_kernelINS1_37wrapped_merge_sort_block_merge_configINS0_14default_configEiN2at4cuda3cub6detail10OpaqueTypeILi4EEEEEPijNS1_19radix_merge_compareILb0ELb0EiNS0_19identity_decomposerEEEEEvT0_T1_jPSH_T2_SH_
; %bb.0:
	s_load_dwordx2 s[0:1], s[4:5], 0x8
	v_lshl_or_b32 v0, s6, 7, v0
	s_waitcnt lgkmcnt(0)
	v_cmp_gt_u32_e32 vcc, s1, v0
	s_and_saveexec_b64 s[2:3], vcc
	s_cbranch_execz .LBB17_6
; %bb.1:
	s_load_dword s1, s[4:5], 0x1c
	s_waitcnt lgkmcnt(0)
	s_lshr_b32 s2, s1, 9
	s_and_b32 s2, s2, 0x7ffffe
	s_add_i32 s3, s2, -1
	s_sub_i32 s2, 0, s2
	v_and_b32_e32 v1, s2, v0
	v_lshlrev_b32_e32 v3, 10, v1
	v_min_u32_e32 v1, s0, v3
	v_add_u32_e32 v3, s1, v3
	v_min_u32_e32 v3, s0, v3
	v_add_u32_e32 v4, s1, v3
	v_and_b32_e32 v2, s3, v0
	v_min_u32_e32 v4, s0, v4
	v_lshlrev_b32_e32 v2, 10, v2
	v_sub_u32_e32 v5, v4, v1
	v_min_u32_e32 v6, v5, v2
	v_sub_u32_e32 v2, v3, v1
	v_sub_u32_e32 v4, v4, v3
	v_sub_u32_e64 v5, v6, v4 clamp
	v_min_u32_e32 v7, v6, v2
	v_cmp_lt_u32_e32 vcc, v5, v7
	s_and_saveexec_b64 s[0:1], vcc
	s_cbranch_execz .LBB17_5
; %bb.2:
	s_load_dwordx2 s[2:3], s[4:5], 0x0
	v_mov_b32_e32 v4, 0
	v_mov_b32_e32 v2, v4
	v_lshlrev_b64 v[8:9], 2, v[1:2]
	s_waitcnt lgkmcnt(0)
	v_mov_b32_e32 v11, s3
	v_add_co_u32_e32 v2, vcc, s2, v8
	v_addc_co_u32_e32 v8, vcc, v11, v9, vcc
	v_lshlrev_b64 v[9:10], 2, v[3:4]
	v_add_co_u32_e32 v9, vcc, s2, v9
	v_addc_co_u32_e32 v10, vcc, v11, v10, vcc
	s_mov_b64 s[2:3], 0
.LBB17_3:                               ; =>This Inner Loop Header: Depth=1
	v_add_u32_e32 v3, v7, v5
	v_lshrrev_b32_e32 v3, 1, v3
	v_lshlrev_b64 v[13:14], 2, v[3:4]
	v_mov_b32_e32 v12, v4
	v_xad_u32 v11, v3, -1, v6
	v_lshlrev_b64 v[11:12], 2, v[11:12]
	v_add_co_u32_e32 v13, vcc, v2, v13
	v_addc_co_u32_e32 v14, vcc, v8, v14, vcc
	v_add_co_u32_e32 v11, vcc, v9, v11
	v_addc_co_u32_e32 v12, vcc, v10, v12, vcc
	global_load_dword v15, v[13:14], off
	global_load_dword v16, v[11:12], off
	v_add_u32_e32 v11, 1, v3
	s_waitcnt vmcnt(0)
	v_cmp_gt_i32_e32 vcc, v15, v16
	v_cndmask_b32_e32 v7, v7, v3, vcc
	v_cndmask_b32_e32 v5, v11, v5, vcc
	v_cmp_ge_u32_e32 vcc, v5, v7
	s_or_b64 s[2:3], vcc, s[2:3]
	s_andn2_b64 exec, exec, s[2:3]
	s_cbranch_execnz .LBB17_3
; %bb.4:
	s_or_b64 exec, exec, s[2:3]
.LBB17_5:
	s_or_b64 exec, exec, s[0:1]
	s_load_dwordx2 s[0:1], s[4:5], 0x10
	v_add_u32_e32 v2, v5, v1
	v_mov_b32_e32 v1, 0
	v_lshlrev_b64 v[0:1], 2, v[0:1]
	s_waitcnt lgkmcnt(0)
	v_mov_b32_e32 v3, s1
	v_add_co_u32_e32 v0, vcc, s0, v0
	v_addc_co_u32_e32 v1, vcc, v3, v1, vcc
	global_store_dword v[0:1], v2, off
.LBB17_6:
	s_endpgm
	.section	.rodata,"a",@progbits
	.p2align	6, 0x0
	.amdhsa_kernel _ZN7rocprim17ROCPRIM_304000_NS6detail45device_block_merge_mergepath_partition_kernelINS1_37wrapped_merge_sort_block_merge_configINS0_14default_configEiN2at4cuda3cub6detail10OpaqueTypeILi4EEEEEPijNS1_19radix_merge_compareILb0ELb0EiNS0_19identity_decomposerEEEEEvT0_T1_jPSH_T2_SH_
		.amdhsa_group_segment_fixed_size 0
		.amdhsa_private_segment_fixed_size 0
		.amdhsa_kernarg_size 32
		.amdhsa_user_sgpr_count 6
		.amdhsa_user_sgpr_private_segment_buffer 1
		.amdhsa_user_sgpr_dispatch_ptr 0
		.amdhsa_user_sgpr_queue_ptr 0
		.amdhsa_user_sgpr_kernarg_segment_ptr 1
		.amdhsa_user_sgpr_dispatch_id 0
		.amdhsa_user_sgpr_flat_scratch_init 0
		.amdhsa_user_sgpr_private_segment_size 0
		.amdhsa_uses_dynamic_stack 0
		.amdhsa_system_sgpr_private_segment_wavefront_offset 0
		.amdhsa_system_sgpr_workgroup_id_x 1
		.amdhsa_system_sgpr_workgroup_id_y 0
		.amdhsa_system_sgpr_workgroup_id_z 0
		.amdhsa_system_sgpr_workgroup_info 0
		.amdhsa_system_vgpr_workitem_id 0
		.amdhsa_next_free_vgpr 17
		.amdhsa_next_free_sgpr 7
		.amdhsa_reserve_vcc 1
		.amdhsa_reserve_flat_scratch 0
		.amdhsa_float_round_mode_32 0
		.amdhsa_float_round_mode_16_64 0
		.amdhsa_float_denorm_mode_32 3
		.amdhsa_float_denorm_mode_16_64 3
		.amdhsa_dx10_clamp 1
		.amdhsa_ieee_mode 1
		.amdhsa_fp16_overflow 0
		.amdhsa_exception_fp_ieee_invalid_op 0
		.amdhsa_exception_fp_denorm_src 0
		.amdhsa_exception_fp_ieee_div_zero 0
		.amdhsa_exception_fp_ieee_overflow 0
		.amdhsa_exception_fp_ieee_underflow 0
		.amdhsa_exception_fp_ieee_inexact 0
		.amdhsa_exception_int_div_zero 0
	.end_amdhsa_kernel
	.section	.text._ZN7rocprim17ROCPRIM_304000_NS6detail45device_block_merge_mergepath_partition_kernelINS1_37wrapped_merge_sort_block_merge_configINS0_14default_configEiN2at4cuda3cub6detail10OpaqueTypeILi4EEEEEPijNS1_19radix_merge_compareILb0ELb0EiNS0_19identity_decomposerEEEEEvT0_T1_jPSH_T2_SH_,"axG",@progbits,_ZN7rocprim17ROCPRIM_304000_NS6detail45device_block_merge_mergepath_partition_kernelINS1_37wrapped_merge_sort_block_merge_configINS0_14default_configEiN2at4cuda3cub6detail10OpaqueTypeILi4EEEEEPijNS1_19radix_merge_compareILb0ELb0EiNS0_19identity_decomposerEEEEEvT0_T1_jPSH_T2_SH_,comdat
.Lfunc_end17:
	.size	_ZN7rocprim17ROCPRIM_304000_NS6detail45device_block_merge_mergepath_partition_kernelINS1_37wrapped_merge_sort_block_merge_configINS0_14default_configEiN2at4cuda3cub6detail10OpaqueTypeILi4EEEEEPijNS1_19radix_merge_compareILb0ELb0EiNS0_19identity_decomposerEEEEEvT0_T1_jPSH_T2_SH_, .Lfunc_end17-_ZN7rocprim17ROCPRIM_304000_NS6detail45device_block_merge_mergepath_partition_kernelINS1_37wrapped_merge_sort_block_merge_configINS0_14default_configEiN2at4cuda3cub6detail10OpaqueTypeILi4EEEEEPijNS1_19radix_merge_compareILb0ELb0EiNS0_19identity_decomposerEEEEEvT0_T1_jPSH_T2_SH_
                                        ; -- End function
	.set _ZN7rocprim17ROCPRIM_304000_NS6detail45device_block_merge_mergepath_partition_kernelINS1_37wrapped_merge_sort_block_merge_configINS0_14default_configEiN2at4cuda3cub6detail10OpaqueTypeILi4EEEEEPijNS1_19radix_merge_compareILb0ELb0EiNS0_19identity_decomposerEEEEEvT0_T1_jPSH_T2_SH_.num_vgpr, 17
	.set _ZN7rocprim17ROCPRIM_304000_NS6detail45device_block_merge_mergepath_partition_kernelINS1_37wrapped_merge_sort_block_merge_configINS0_14default_configEiN2at4cuda3cub6detail10OpaqueTypeILi4EEEEEPijNS1_19radix_merge_compareILb0ELb0EiNS0_19identity_decomposerEEEEEvT0_T1_jPSH_T2_SH_.num_agpr, 0
	.set _ZN7rocprim17ROCPRIM_304000_NS6detail45device_block_merge_mergepath_partition_kernelINS1_37wrapped_merge_sort_block_merge_configINS0_14default_configEiN2at4cuda3cub6detail10OpaqueTypeILi4EEEEEPijNS1_19radix_merge_compareILb0ELb0EiNS0_19identity_decomposerEEEEEvT0_T1_jPSH_T2_SH_.numbered_sgpr, 7
	.set _ZN7rocprim17ROCPRIM_304000_NS6detail45device_block_merge_mergepath_partition_kernelINS1_37wrapped_merge_sort_block_merge_configINS0_14default_configEiN2at4cuda3cub6detail10OpaqueTypeILi4EEEEEPijNS1_19radix_merge_compareILb0ELb0EiNS0_19identity_decomposerEEEEEvT0_T1_jPSH_T2_SH_.num_named_barrier, 0
	.set _ZN7rocprim17ROCPRIM_304000_NS6detail45device_block_merge_mergepath_partition_kernelINS1_37wrapped_merge_sort_block_merge_configINS0_14default_configEiN2at4cuda3cub6detail10OpaqueTypeILi4EEEEEPijNS1_19radix_merge_compareILb0ELb0EiNS0_19identity_decomposerEEEEEvT0_T1_jPSH_T2_SH_.private_seg_size, 0
	.set _ZN7rocprim17ROCPRIM_304000_NS6detail45device_block_merge_mergepath_partition_kernelINS1_37wrapped_merge_sort_block_merge_configINS0_14default_configEiN2at4cuda3cub6detail10OpaqueTypeILi4EEEEEPijNS1_19radix_merge_compareILb0ELb0EiNS0_19identity_decomposerEEEEEvT0_T1_jPSH_T2_SH_.uses_vcc, 1
	.set _ZN7rocprim17ROCPRIM_304000_NS6detail45device_block_merge_mergepath_partition_kernelINS1_37wrapped_merge_sort_block_merge_configINS0_14default_configEiN2at4cuda3cub6detail10OpaqueTypeILi4EEEEEPijNS1_19radix_merge_compareILb0ELb0EiNS0_19identity_decomposerEEEEEvT0_T1_jPSH_T2_SH_.uses_flat_scratch, 0
	.set _ZN7rocprim17ROCPRIM_304000_NS6detail45device_block_merge_mergepath_partition_kernelINS1_37wrapped_merge_sort_block_merge_configINS0_14default_configEiN2at4cuda3cub6detail10OpaqueTypeILi4EEEEEPijNS1_19radix_merge_compareILb0ELb0EiNS0_19identity_decomposerEEEEEvT0_T1_jPSH_T2_SH_.has_dyn_sized_stack, 0
	.set _ZN7rocprim17ROCPRIM_304000_NS6detail45device_block_merge_mergepath_partition_kernelINS1_37wrapped_merge_sort_block_merge_configINS0_14default_configEiN2at4cuda3cub6detail10OpaqueTypeILi4EEEEEPijNS1_19radix_merge_compareILb0ELb0EiNS0_19identity_decomposerEEEEEvT0_T1_jPSH_T2_SH_.has_recursion, 0
	.set _ZN7rocprim17ROCPRIM_304000_NS6detail45device_block_merge_mergepath_partition_kernelINS1_37wrapped_merge_sort_block_merge_configINS0_14default_configEiN2at4cuda3cub6detail10OpaqueTypeILi4EEEEEPijNS1_19radix_merge_compareILb0ELb0EiNS0_19identity_decomposerEEEEEvT0_T1_jPSH_T2_SH_.has_indirect_call, 0
	.section	.AMDGPU.csdata,"",@progbits
; Kernel info:
; codeLenInByte = 364
; TotalNumSgprs: 11
; NumVgprs: 17
; ScratchSize: 0
; MemoryBound: 0
; FloatMode: 240
; IeeeMode: 1
; LDSByteSize: 0 bytes/workgroup (compile time only)
; SGPRBlocks: 1
; VGPRBlocks: 4
; NumSGPRsForWavesPerEU: 11
; NumVGPRsForWavesPerEU: 17
; Occupancy: 10
; WaveLimiterHint : 0
; COMPUTE_PGM_RSRC2:SCRATCH_EN: 0
; COMPUTE_PGM_RSRC2:USER_SGPR: 6
; COMPUTE_PGM_RSRC2:TRAP_HANDLER: 0
; COMPUTE_PGM_RSRC2:TGID_X_EN: 1
; COMPUTE_PGM_RSRC2:TGID_Y_EN: 0
; COMPUTE_PGM_RSRC2:TGID_Z_EN: 0
; COMPUTE_PGM_RSRC2:TIDIG_COMP_CNT: 0
	.section	.text._ZN7rocprim17ROCPRIM_304000_NS6detail35device_block_merge_mergepath_kernelINS1_37wrapped_merge_sort_block_merge_configINS0_14default_configEiN2at4cuda3cub6detail10OpaqueTypeILi4EEEEEPiSC_PSA_SD_jNS1_19radix_merge_compareILb0ELb0EiNS0_19identity_decomposerEEEEEvT0_T1_T2_T3_T4_SL_jT5_PKSL_NS1_7vsmem_tE,"axG",@progbits,_ZN7rocprim17ROCPRIM_304000_NS6detail35device_block_merge_mergepath_kernelINS1_37wrapped_merge_sort_block_merge_configINS0_14default_configEiN2at4cuda3cub6detail10OpaqueTypeILi4EEEEEPiSC_PSA_SD_jNS1_19radix_merge_compareILb0ELb0EiNS0_19identity_decomposerEEEEEvT0_T1_T2_T3_T4_SL_jT5_PKSL_NS1_7vsmem_tE,comdat
	.protected	_ZN7rocprim17ROCPRIM_304000_NS6detail35device_block_merge_mergepath_kernelINS1_37wrapped_merge_sort_block_merge_configINS0_14default_configEiN2at4cuda3cub6detail10OpaqueTypeILi4EEEEEPiSC_PSA_SD_jNS1_19radix_merge_compareILb0ELb0EiNS0_19identity_decomposerEEEEEvT0_T1_T2_T3_T4_SL_jT5_PKSL_NS1_7vsmem_tE ; -- Begin function _ZN7rocprim17ROCPRIM_304000_NS6detail35device_block_merge_mergepath_kernelINS1_37wrapped_merge_sort_block_merge_configINS0_14default_configEiN2at4cuda3cub6detail10OpaqueTypeILi4EEEEEPiSC_PSA_SD_jNS1_19radix_merge_compareILb0ELb0EiNS0_19identity_decomposerEEEEEvT0_T1_T2_T3_T4_SL_jT5_PKSL_NS1_7vsmem_tE
	.globl	_ZN7rocprim17ROCPRIM_304000_NS6detail35device_block_merge_mergepath_kernelINS1_37wrapped_merge_sort_block_merge_configINS0_14default_configEiN2at4cuda3cub6detail10OpaqueTypeILi4EEEEEPiSC_PSA_SD_jNS1_19radix_merge_compareILb0ELb0EiNS0_19identity_decomposerEEEEEvT0_T1_T2_T3_T4_SL_jT5_PKSL_NS1_7vsmem_tE
	.p2align	8
	.type	_ZN7rocprim17ROCPRIM_304000_NS6detail35device_block_merge_mergepath_kernelINS1_37wrapped_merge_sort_block_merge_configINS0_14default_configEiN2at4cuda3cub6detail10OpaqueTypeILi4EEEEEPiSC_PSA_SD_jNS1_19radix_merge_compareILb0ELb0EiNS0_19identity_decomposerEEEEEvT0_T1_T2_T3_T4_SL_jT5_PKSL_NS1_7vsmem_tE,@function
_ZN7rocprim17ROCPRIM_304000_NS6detail35device_block_merge_mergepath_kernelINS1_37wrapped_merge_sort_block_merge_configINS0_14default_configEiN2at4cuda3cub6detail10OpaqueTypeILi4EEEEEPiSC_PSA_SD_jNS1_19radix_merge_compareILb0ELb0EiNS0_19identity_decomposerEEEEEvT0_T1_T2_T3_T4_SL_jT5_PKSL_NS1_7vsmem_tE: ; @_ZN7rocprim17ROCPRIM_304000_NS6detail35device_block_merge_mergepath_kernelINS1_37wrapped_merge_sort_block_merge_configINS0_14default_configEiN2at4cuda3cub6detail10OpaqueTypeILi4EEEEEPiSC_PSA_SD_jNS1_19radix_merge_compareILb0ELb0EiNS0_19identity_decomposerEEEEEvT0_T1_T2_T3_T4_SL_jT5_PKSL_NS1_7vsmem_tE
; %bb.0:
	s_load_dwordx2 s[10:11], s[4:5], 0x40
	s_load_dwordx4 s[20:23], s[4:5], 0x20
	s_add_u32 s2, s4, 64
	s_addc_u32 s3, s5, 0
	s_waitcnt lgkmcnt(0)
	s_mul_i32 s0, s11, s8
	s_add_i32 s0, s0, s7
	s_mul_i32 s0, s0, s10
	s_add_i32 s0, s0, s6
	s_cmp_ge_u32 s0, s22
	s_cbranch_scc1 .LBB18_103
; %bb.1:
	s_load_dwordx8 s[12:19], s[4:5], 0x0
	s_load_dwordx2 s[8:9], s[4:5], 0x30
	s_lshr_b32 s11, s20, 10
	s_cmp_lg_u32 s0, s11
	s_mov_b32 s1, 0
	s_cselect_b64 s[24:25], -1, 0
	s_lshl_b64 s[4:5], s[0:1], 2
	s_waitcnt lgkmcnt(0)
	s_add_u32 s4, s8, s4
	s_addc_u32 s5, s9, s5
	s_load_dwordx2 s[26:27], s[4:5], 0x0
	s_lshr_b32 s4, s21, 9
	s_and_b32 s4, s4, 0x7ffffe
	s_sub_i32 s4, 0, s4
	s_and_b32 s5, s0, s4
	s_lshl_b32 s7, s5, 10
	s_lshl_b32 s22, s0, 10
	;; [unrolled: 1-line block ×3, first 2 shown]
	s_sub_i32 s8, s22, s7
	s_add_i32 s5, s5, s21
	s_add_i32 s8, s5, s8
	s_waitcnt lgkmcnt(0)
	s_sub_i32 s9, s8, s26
	s_sub_i32 s8, s8, s27
	;; [unrolled: 1-line block ×3, first 2 shown]
	s_min_u32 s28, s20, s9
	s_addk_i32 s8, 0x400
	s_or_b32 s4, s0, s4
	s_min_u32 s7, s20, s5
	s_add_i32 s5, s5, s21
	s_cmp_eq_u32 s4, -1
	s_cselect_b32 s4, s5, s8
	s_cselect_b32 s5, s7, s27
	s_min_u32 s4, s4, s20
	s_mov_b32 s27, s1
	s_sub_i32 s23, s5, s26
	s_sub_i32 s33, s4, s28
	s_lshl_b64 s[30:31], s[26:27], 2
	s_add_u32 s5, s12, s30
	s_mov_b32 s29, s1
	s_addc_u32 s7, s13, s31
	s_lshl_b64 s[34:35], s[28:29], 2
	s_add_u32 s4, s12, s34
	v_mov_b32_e32 v10, 0
	global_load_dword v1, v10, s[2:3] offset:14
	s_addc_u32 s8, s13, s35
	s_cmp_lt_u32 s6, s10
	s_cselect_b32 s1, 12, 18
	s_add_u32 s2, s2, s1
	s_addc_u32 s3, s3, 0
	global_load_ushort v2, v10, s[2:3]
	s_cmp_eq_u32 s0, s11
	v_cmp_gt_u32_e32 vcc, s23, v0
	v_lshlrev_b32_e32 v13, 2, v0
	s_waitcnt vmcnt(1)
	v_lshrrev_b32_e32 v3, 16, v1
	v_and_b32_e32 v1, 0xffff, v1
	v_mul_lo_u32 v1, v1, v3
	s_waitcnt vmcnt(0)
	v_mul_lo_u32 v11, v1, v2
	v_add_u32_e32 v9, v11, v0
	s_cbranch_scc1 .LBB18_3
; %bb.2:
	v_mov_b32_e32 v1, s7
	v_add_co_u32_e64 v3, s[0:1], s5, v13
	v_subrev_u32_e32 v2, s23, v0
	v_addc_co_u32_e64 v1, s[0:1], 0, v1, s[0:1]
	v_lshlrev_b32_e32 v2, 2, v2
	v_mov_b32_e32 v4, s8
	v_add_co_u32_e64 v5, s[0:1], s4, v2
	v_addc_co_u32_e64 v2, s[0:1], 0, v4, s[0:1]
	v_cndmask_b32_e32 v2, v2, v1, vcc
	v_cndmask_b32_e32 v1, v5, v3, vcc
	global_load_dword v1, v[1:2], off
	v_lshlrev_b64 v[2:3], 2, v[9:10]
	v_mov_b32_e32 v4, s7
	v_add_co_u32_e32 v5, vcc, s5, v2
	v_addc_co_u32_e32 v4, vcc, v4, v3, vcc
	v_subrev_co_u32_e32 v2, vcc, s23, v9
	v_mov_b32_e32 v3, v10
	v_lshlrev_b64 v[2:3], 2, v[2:3]
	v_mov_b32_e32 v6, s8
	v_add_co_u32_e64 v2, s[0:1], s4, v2
	v_addc_co_u32_e64 v3, s[0:1], v6, v3, s[0:1]
	v_cndmask_b32_e32 v3, v3, v4, vcc
	v_cndmask_b32_e32 v2, v2, v5, vcc
	v_add_u32_e32 v4, v9, v11
	v_mov_b32_e32 v5, v10
	v_lshlrev_b64 v[5:6], 2, v[4:5]
	global_load_dword v2, v[2:3], off
	v_mov_b32_e32 v3, s7
	v_add_co_u32_e32 v7, vcc, s5, v5
	v_addc_co_u32_e32 v3, vcc, v3, v6, vcc
	v_subrev_co_u32_e32 v5, vcc, s23, v4
	v_mov_b32_e32 v6, v10
	v_lshlrev_b64 v[5:6], 2, v[5:6]
	v_mov_b32_e32 v8, s8
	v_add_co_u32_e64 v5, s[0:1], s4, v5
	v_addc_co_u32_e64 v6, s[0:1], v8, v6, s[0:1]
	v_cndmask_b32_e32 v6, v6, v3, vcc
	v_cndmask_b32_e32 v5, v5, v7, vcc
	global_load_dword v3, v[5:6], off
	v_add_u32_e32 v5, v4, v11
	v_mov_b32_e32 v6, v10
	v_lshlrev_b64 v[6:7], 2, v[5:6]
	v_mov_b32_e32 v4, s7
	v_add_co_u32_e32 v8, vcc, s5, v6
	v_addc_co_u32_e32 v4, vcc, v4, v7, vcc
	v_subrev_co_u32_e32 v6, vcc, s23, v5
	v_mov_b32_e32 v7, v10
	v_lshlrev_b64 v[6:7], 2, v[6:7]
	v_mov_b32_e32 v12, s8
	v_add_co_u32_e64 v6, s[0:1], s4, v6
	v_addc_co_u32_e64 v7, s[0:1], v12, v7, s[0:1]
	v_cndmask_b32_e32 v7, v7, v4, vcc
	v_cndmask_b32_e32 v6, v6, v8, vcc
	global_load_dword v4, v[6:7], off
	v_add_u32_e32 v6, v5, v11
	v_mov_b32_e32 v7, v10
	v_lshlrev_b64 v[7:8], 2, v[6:7]
	;; [unrolled: 15-line block ×4, first 2 shown]
	v_mov_b32_e32 v12, s7
	v_add_co_u32_e32 v15, vcc, s5, v7
	v_addc_co_u32_e32 v12, vcc, v12, v8, vcc
	v_subrev_co_u32_e32 v7, vcc, s23, v14
	v_mov_b32_e32 v8, v10
	v_lshlrev_b64 v[7:8], 2, v[7:8]
	v_mov_b32_e32 v16, s8
	v_add_co_u32_e64 v7, s[0:1], s4, v7
	v_cndmask_b32_e32 v7, v7, v15, vcc
	v_add_u32_e32 v14, v14, v11
	v_mov_b32_e32 v15, v10
	v_addc_co_u32_e64 v8, s[0:1], v16, v8, s[0:1]
	v_lshlrev_b64 v[15:16], 2, v[14:15]
	v_cndmask_b32_e32 v8, v8, v12, vcc
	global_load_dword v7, v[7:8], off
	v_mov_b32_e32 v8, s7
	v_add_co_u32_e32 v12, vcc, s5, v15
	v_addc_co_u32_e32 v8, vcc, v8, v16, vcc
	v_subrev_co_u32_e32 v14, vcc, s23, v14
	v_mov_b32_e32 v15, v10
	v_lshlrev_b64 v[14:15], 2, v[14:15]
	v_mov_b32_e32 v10, s8
	v_add_co_u32_e64 v14, s[0:1], s4, v14
	v_addc_co_u32_e64 v10, s[0:1], v10, v15, s[0:1]
	v_cndmask_b32_e32 v15, v10, v8, vcc
	v_cndmask_b32_e32 v14, v14, v12, vcc
	global_load_dword v8, v[14:15], off
	s_add_i32 s21, s33, s23
	s_cbranch_execz .LBB18_4
	s_branch .LBB18_21
.LBB18_3:
                                        ; implicit-def: $vgpr1_vgpr2_vgpr3_vgpr4_vgpr5_vgpr6_vgpr7_vgpr8
                                        ; implicit-def: $sgpr21
.LBB18_4:
	s_add_i32 s21, s33, s23
	s_waitcnt vmcnt(7)
	v_mov_b32_e32 v1, 0
	v_cmp_gt_u32_e32 vcc, s21, v0
	s_waitcnt vmcnt(6)
	v_mov_b32_e32 v2, v1
	s_waitcnt vmcnt(5)
	v_mov_b32_e32 v3, v1
	;; [unrolled: 2-line block ×7, first 2 shown]
	s_and_saveexec_b64 s[0:1], vcc
	s_cbranch_execz .LBB18_6
; %bb.5:
	v_mov_b32_e32 v2, s7
	v_add_co_u32_e32 v4, vcc, s5, v13
	v_subrev_u32_e32 v3, s23, v0
	v_addc_co_u32_e32 v2, vcc, 0, v2, vcc
	v_lshlrev_b32_e32 v3, 2, v3
	v_mov_b32_e32 v5, s8
	v_add_co_u32_e32 v6, vcc, s4, v3
	v_addc_co_u32_e32 v3, vcc, 0, v5, vcc
	v_cmp_gt_u32_e32 vcc, s23, v0
	v_cndmask_b32_e32 v3, v3, v2, vcc
	v_cndmask_b32_e32 v2, v6, v4, vcc
	global_load_dword v14, v[2:3], off
	v_mov_b32_e32 v15, v1
	v_mov_b32_e32 v16, v1
	v_mov_b32_e32 v17, v1
	v_mov_b32_e32 v18, v1
	v_mov_b32_e32 v19, v1
	v_mov_b32_e32 v20, v1
	v_mov_b32_e32 v21, v1
	s_waitcnt vmcnt(0)
	v_mov_b32_e32 v1, v14
	v_mov_b32_e32 v2, v15
	;; [unrolled: 1-line block ×8, first 2 shown]
.LBB18_6:
	s_or_b64 exec, exec, s[0:1]
	v_cmp_gt_u32_e32 vcc, s21, v9
	s_and_saveexec_b64 s[2:3], vcc
	s_cbranch_execz .LBB18_8
; %bb.7:
	v_mov_b32_e32 v10, 0
	v_lshlrev_b64 v[14:15], 2, v[9:10]
	v_mov_b32_e32 v2, s7
	v_add_co_u32_e32 v12, vcc, s5, v14
	v_addc_co_u32_e32 v2, vcc, v2, v15, vcc
	v_subrev_co_u32_e32 v14, vcc, s23, v9
	v_mov_b32_e32 v15, v10
	v_lshlrev_b64 v[14:15], 2, v[14:15]
	v_mov_b32_e32 v10, s8
	v_add_co_u32_e64 v14, s[0:1], s4, v14
	v_addc_co_u32_e64 v10, s[0:1], v10, v15, s[0:1]
	v_cndmask_b32_e32 v15, v10, v2, vcc
	v_cndmask_b32_e32 v14, v14, v12, vcc
	global_load_dword v2, v[14:15], off
.LBB18_8:
	s_or_b64 exec, exec, s[2:3]
	v_add_u32_e32 v9, v9, v11
	v_cmp_gt_u32_e32 vcc, s21, v9
	s_and_saveexec_b64 s[2:3], vcc
	s_cbranch_execz .LBB18_10
; %bb.9:
	v_mov_b32_e32 v10, 0
	v_lshlrev_b64 v[14:15], 2, v[9:10]
	v_mov_b32_e32 v3, s7
	v_add_co_u32_e32 v12, vcc, s5, v14
	v_addc_co_u32_e32 v3, vcc, v3, v15, vcc
	v_subrev_co_u32_e32 v14, vcc, s23, v9
	v_mov_b32_e32 v15, v10
	v_lshlrev_b64 v[14:15], 2, v[14:15]
	v_mov_b32_e32 v10, s8
	v_add_co_u32_e64 v14, s[0:1], s4, v14
	v_addc_co_u32_e64 v10, s[0:1], v10, v15, s[0:1]
	v_cndmask_b32_e32 v15, v10, v3, vcc
	v_cndmask_b32_e32 v14, v14, v12, vcc
	global_load_dword v3, v[14:15], off
.LBB18_10:
	s_or_b64 exec, exec, s[2:3]
	v_add_u32_e32 v9, v9, v11
	;; [unrolled: 21-line block ×6, first 2 shown]
	v_cmp_gt_u32_e32 vcc, s21, v9
	s_and_saveexec_b64 s[2:3], vcc
	s_cbranch_execz .LBB18_20
; %bb.19:
	v_mov_b32_e32 v10, 0
	v_lshlrev_b64 v[11:12], 2, v[9:10]
	v_mov_b32_e32 v8, s7
	v_add_co_u32_e32 v11, vcc, s5, v11
	v_addc_co_u32_e32 v12, vcc, v8, v12, vcc
	v_subrev_co_u32_e32 v9, vcc, s23, v9
	v_lshlrev_b64 v[8:9], 2, v[9:10]
	v_mov_b32_e32 v10, s8
	v_add_co_u32_e64 v8, s[0:1], s4, v8
	v_addc_co_u32_e64 v9, s[0:1], v10, v9, s[0:1]
	v_cndmask_b32_e32 v9, v9, v12, vcc
	v_cndmask_b32_e32 v8, v8, v11, vcc
	global_load_dword v8, v[8:9], off
.LBB18_20:
	s_or_b64 exec, exec, s[2:3]
.LBB18_21:
	v_lshlrev_b32_e32 v14, 3, v0
	v_min_u32_e32 v10, s21, v14
	v_sub_u32_e64 v9, v10, s33 clamp
	v_min_u32_e32 v11, s23, v10
	v_cmp_lt_u32_e32 vcc, v9, v11
	s_waitcnt vmcnt(0)
	ds_write2st64_b32 v13, v1, v2 offset1:2
	ds_write2st64_b32 v13, v3, v4 offset0:4 offset1:6
	ds_write2st64_b32 v13, v5, v6 offset0:8 offset1:10
	;; [unrolled: 1-line block ×3, first 2 shown]
	s_waitcnt lgkmcnt(0)
	s_barrier
	s_and_saveexec_b64 s[0:1], vcc
	s_cbranch_execz .LBB18_25
; %bb.22:
	v_lshlrev_b32_e32 v12, 2, v10
	v_lshl_add_u32 v12, s23, 2, v12
	s_mov_b64 s[2:3], 0
.LBB18_23:                              ; =>This Inner Loop Header: Depth=1
	v_add_u32_e32 v15, v11, v9
	v_lshrrev_b32_e32 v15, 1, v15
	v_not_b32_e32 v16, v15
	v_lshlrev_b32_e32 v17, 2, v15
	v_lshl_add_u32 v16, v16, 2, v12
	ds_read_b32 v17, v17
	ds_read_b32 v16, v16
	v_add_u32_e32 v18, 1, v15
	s_waitcnt lgkmcnt(0)
	v_cmp_gt_i32_e32 vcc, v17, v16
	v_cndmask_b32_e32 v11, v11, v15, vcc
	v_cndmask_b32_e32 v9, v18, v9, vcc
	v_cmp_ge_u32_e32 vcc, v9, v11
	s_or_b64 s[2:3], vcc, s[2:3]
	s_andn2_b64 exec, exec, s[2:3]
	s_cbranch_execnz .LBB18_23
; %bb.24:
	s_or_b64 exec, exec, s[2:3]
.LBB18_25:
	s_or_b64 exec, exec, s[0:1]
	v_sub_u32_e32 v10, v10, v9
	v_add_u32_e32 v10, s23, v10
	v_cmp_ge_u32_e32 vcc, s23, v9
	v_cmp_ge_u32_e64 s[0:1], s21, v10
	s_or_b64 s[0:1], vcc, s[0:1]
	v_mov_b32_e32 v15, 0
	v_mov_b32_e32 v16, 0
	;; [unrolled: 1-line block ×8, first 2 shown]
	s_and_saveexec_b64 s[36:37], s[0:1]
	s_cbranch_execz .LBB18_31
; %bb.26:
	v_cmp_gt_u32_e32 vcc, s23, v9
                                        ; implicit-def: $vgpr1
	s_and_saveexec_b64 s[0:1], vcc
; %bb.27:
	v_lshlrev_b32_e32 v1, 2, v9
	ds_read_b32 v1, v1
; %bb.28:
	s_or_b64 exec, exec, s[0:1]
	v_cmp_le_u32_e64 s[0:1], s21, v10
	v_cmp_gt_u32_e64 s[2:3], s21, v10
                                        ; implicit-def: $vgpr2
	s_and_saveexec_b64 s[4:5], s[2:3]
; %bb.29:
	v_lshlrev_b32_e32 v2, 2, v10
	ds_read_b32 v2, v2
; %bb.30:
	s_or_b64 exec, exec, s[4:5]
	s_waitcnt lgkmcnt(0)
	v_cmp_le_i32_e64 s[2:3], v1, v2
	s_and_b64 s[2:3], vcc, s[2:3]
	s_or_b64 vcc, s[0:1], s[2:3]
	v_mov_b32_e32 v4, s21
	v_mov_b32_e32 v5, s23
	v_cndmask_b32_e32 v22, v10, v9, vcc
	v_cndmask_b32_e32 v3, v4, v5, vcc
	v_add_u32_e32 v6, 1, v22
	v_add_u32_e32 v3, -1, v3
	v_min_u32_e32 v3, v6, v3
	v_lshlrev_b32_e32 v3, 2, v3
	ds_read_b32 v3, v3
	v_cndmask_b32_e32 v8, v6, v10, vcc
	v_cndmask_b32_e32 v6, v9, v6, vcc
	v_cmp_gt_u32_e64 s[2:3], s23, v6
	v_cmp_le_u32_e64 s[0:1], s21, v8
	s_waitcnt lgkmcnt(0)
	v_cndmask_b32_e32 v7, v3, v2, vcc
	v_cndmask_b32_e32 v3, v1, v3, vcc
	v_cmp_le_i32_e64 s[4:5], v3, v7
	s_and_b64 s[2:3], s[2:3], s[4:5]
	s_or_b64 s[0:1], s[0:1], s[2:3]
	v_cndmask_b32_e64 v21, v8, v6, s[0:1]
	v_cndmask_b32_e64 v9, v4, v5, s[0:1]
	v_add_u32_e32 v10, 1, v21
	v_add_u32_e32 v9, -1, v9
	v_min_u32_e32 v9, v10, v9
	v_lshlrev_b32_e32 v9, 2, v9
	ds_read_b32 v9, v9
	v_cndmask_b32_e64 v6, v6, v10, s[0:1]
	v_cndmask_b32_e64 v8, v10, v8, s[0:1]
	v_cmp_gt_u32_e64 s[4:5], s23, v6
	v_cmp_le_u32_e64 s[2:3], s21, v8
	s_waitcnt lgkmcnt(0)
	v_cndmask_b32_e64 v11, v9, v7, s[0:1]
	v_cndmask_b32_e64 v9, v3, v9, s[0:1]
	v_cmp_le_i32_e64 s[6:7], v9, v11
	s_and_b64 s[4:5], s[4:5], s[6:7]
	s_or_b64 s[2:3], s[2:3], s[4:5]
	v_cndmask_b32_e64 v20, v8, v6, s[2:3]
	v_cndmask_b32_e64 v10, v4, v5, s[2:3]
	v_add_u32_e32 v12, 1, v20
	v_add_u32_e32 v10, -1, v10
	v_min_u32_e32 v10, v12, v10
	v_lshlrev_b32_e32 v10, 2, v10
	ds_read_b32 v10, v10
	v_cndmask_b32_e64 v6, v6, v12, s[2:3]
	v_cndmask_b32_e64 v8, v12, v8, s[2:3]
	v_cmp_gt_u32_e64 s[6:7], s23, v6
	v_cmp_le_u32_e64 s[4:5], s21, v8
	s_waitcnt lgkmcnt(0)
	v_cndmask_b32_e64 v15, v10, v11, s[2:3]
	v_cndmask_b32_e64 v10, v9, v10, s[2:3]
	;; [unrolled: 17-line block ×4, first 2 shown]
	v_cmp_le_i32_e64 s[12:13], v25, v24
	s_and_b64 s[10:11], s[10:11], s[12:13]
	s_or_b64 s[8:9], s[8:9], s[10:11]
	v_cndmask_b32_e64 v17, v8, v6, s[8:9]
	v_cndmask_b32_e64 v16, v4, v5, s[8:9]
	v_add_u32_e32 v26, 1, v17
	v_add_u32_e32 v16, -1, v16
	v_min_u32_e32 v16, v26, v16
	v_lshlrev_b32_e32 v16, 2, v16
	ds_read_b32 v16, v16
	v_cndmask_b32_e32 v1, v2, v1, vcc
	v_cndmask_b32_e64 v2, v7, v3, s[0:1]
	v_cndmask_b32_e64 v3, v11, v9, s[2:3]
	;; [unrolled: 1-line block ×3, first 2 shown]
	s_waitcnt lgkmcnt(0)
	v_cndmask_b32_e64 v9, v16, v24, s[8:9]
	v_cndmask_b32_e64 v11, v25, v16, s[8:9]
	v_cndmask_b32_e64 v26, v6, v26, s[8:9]
	v_cmp_gt_u32_e64 s[0:1], s23, v26
	v_cmp_le_i32_e64 s[2:3], v11, v9
	v_cmp_le_u32_e32 vcc, s21, v8
	s_and_b64 s[0:1], s[0:1], s[2:3]
	s_or_b64 vcc, vcc, s[0:1]
	v_cndmask_b32_e32 v16, v8, v26, vcc
	v_cndmask_b32_e32 v4, v4, v5, vcc
	v_add_u32_e32 v27, 1, v16
	v_add_u32_e32 v4, -1, v4
	v_min_u32_e32 v4, v27, v4
	v_lshlrev_b32_e32 v4, 2, v4
	ds_read_b32 v28, v4
	v_cndmask_b32_e64 v4, v15, v10, s[4:5]
	v_cndmask_b32_e32 v7, v9, v11, vcc
	v_cndmask_b32_e32 v8, v27, v8, vcc
	v_cndmask_b32_e64 v5, v23, v12, s[6:7]
	s_waitcnt lgkmcnt(0)
	v_cndmask_b32_e32 v9, v28, v9, vcc
	v_cndmask_b32_e32 v10, v11, v28, vcc
	;; [unrolled: 1-line block ×3, first 2 shown]
	v_cmp_gt_u32_e64 s[0:1], s23, v11
	v_cmp_le_i32_e64 s[2:3], v10, v9
	v_cmp_le_u32_e32 vcc, s21, v8
	s_and_b64 s[0:1], s[0:1], s[2:3]
	s_or_b64 vcc, vcc, s[0:1]
	v_cndmask_b32_e64 v6, v24, v25, s[8:9]
	v_cndmask_b32_e32 v15, v8, v11, vcc
	v_cndmask_b32_e32 v8, v9, v10, vcc
.LBB18_31:
	s_or_b64 exec, exec, s[36:37]
	s_add_u32 s8, s16, s30
	s_addc_u32 s9, s17, s31
	s_add_u32 s6, s16, s34
	v_cndmask_b32_e64 v9, 0, 1, s[24:25]
	s_addc_u32 s7, s17, s35
	v_cmp_gt_u32_e64 s[4:5], s23, v0
	v_cmp_ne_u32_e64 s[0:1], 1, v9
	s_andn2_b64 vcc, exec, s[24:25]
	v_cmp_le_u32_e64 s[2:3], s23, v0
	s_barrier
	s_cbranch_vccnz .LBB18_33
; %bb.32:
	v_subrev_u32_e32 v9, s23, v0
	v_lshlrev_b32_e32 v9, 2, v9
	v_mov_b32_e32 v10, s7
	v_add_co_u32_e32 v9, vcc, s6, v9
	v_addc_co_u32_e32 v10, vcc, 0, v10, vcc
	v_mov_b32_e32 v11, s9
	v_add_co_u32_e32 v12, vcc, s8, v13
	v_addc_co_u32_e32 v11, vcc, 0, v11, vcc
	v_cndmask_b32_e64 v10, v10, v11, s[4:5]
	v_cndmask_b32_e64 v9, v9, v12, s[4:5]
	global_load_dword v11, v[9:10], off
	v_or_b32_e32 v9, 0x80, v0
	v_subrev_u32_e32 v10, s23, v9
	v_min_u32_e32 v10, v9, v10
	v_cmp_gt_u32_e32 vcc, s23, v9
	v_mov_b32_e32 v25, s6
	v_mov_b32_e32 v26, s8
	;; [unrolled: 1-line block ×4, first 2 shown]
	v_cndmask_b32_e32 v9, v25, v26, vcc
	v_lshlrev_b32_e32 v10, 2, v10
	v_cndmask_b32_e32 v23, v12, v24, vcc
	v_add_co_u32_e32 v9, vcc, v9, v10
	v_addc_co_u32_e32 v10, vcc, 0, v23, vcc
	global_load_dword v23, v[9:10], off
	v_or_b32_e32 v9, 0x100, v0
	v_subrev_u32_e32 v10, s23, v9
	v_min_u32_e32 v10, v9, v10
	v_cmp_gt_u32_e32 vcc, s23, v9
	v_cndmask_b32_e32 v9, v25, v26, vcc
	v_lshlrev_b32_e32 v10, 2, v10
	v_cndmask_b32_e32 v27, v12, v24, vcc
	v_add_co_u32_e32 v9, vcc, v9, v10
	v_addc_co_u32_e32 v10, vcc, 0, v27, vcc
	global_load_dword v27, v[9:10], off
	v_or_b32_e32 v9, 0x180, v0
	v_subrev_u32_e32 v10, s23, v9
	v_min_u32_e32 v10, v9, v10
	v_cmp_gt_u32_e32 vcc, s23, v9
	;; [unrolled: 10-line block ×5, first 2 shown]
	v_cndmask_b32_e32 v9, v25, v26, vcc
	v_lshlrev_b32_e32 v10, 2, v10
	v_cndmask_b32_e32 v31, v12, v24, vcc
	v_add_co_u32_e32 v9, vcc, v9, v10
	v_addc_co_u32_e32 v10, vcc, 0, v31, vcc
	global_load_dword v9, v[9:10], off
	s_mov_b64 s[4:5], -1
	s_waitcnt vmcnt(5)
	ds_write2st64_b32 v13, v11, v23 offset1:2
	s_waitcnt vmcnt(3)
	ds_write2st64_b32 v13, v27, v28 offset0:4 offset1:6
	s_waitcnt vmcnt(1)
	ds_write2st64_b32 v13, v29, v30 offset0:8 offset1:10
	s_waitcnt vmcnt(0)
	ds_write_b32 v13, v9 offset:3072
	v_or_b32_e32 v23, 0x380, v0
	v_subrev_u32_e32 v9, s23, v23
	v_cmp_gt_u32_e32 vcc, s23, v23
	v_min_u32_e32 v11, v23, v9
	v_cndmask_b32_e32 v10, v12, v24, vcc
	v_cndmask_b32_e32 v9, v25, v26, vcc
	s_cbranch_execz .LBB18_34
	s_branch .LBB18_65
.LBB18_33:
	s_mov_b64 s[4:5], 0
                                        ; implicit-def: $vgpr23
                                        ; implicit-def: $vgpr9_vgpr10
                                        ; implicit-def: $vgpr11
.LBB18_34:
	s_mov_b64 s[4:5], 0
                                        ; implicit-def: $vgpr9_vgpr10
	s_and_saveexec_b64 s[10:11], s[2:3]
	s_xor_b64 s[2:3], exec, s[10:11]
	s_cbranch_execnz .LBB18_104
; %bb.35:
	s_andn2_saveexec_b64 s[2:3], s[2:3]
	s_cbranch_execnz .LBB18_107
.LBB18_36:
	s_or_b64 exec, exec, s[2:3]
	s_and_saveexec_b64 s[2:3], s[4:5]
	s_cbranch_execz .LBB18_38
.LBB18_37:
	global_load_dword v9, v[9:10], off
	s_waitcnt vmcnt(0)
	ds_write_b32 v13, v9
.LBB18_38:
	s_or_b64 exec, exec, s[2:3]
	v_or_b32_e32 v11, 0x80, v0
	v_mov_b32_e32 v9, s26
	v_cmp_le_u32_e32 vcc, s23, v11
	s_mov_b64 s[2:3], -1
	v_mov_b32_e32 v10, s27
	s_and_saveexec_b64 s[4:5], vcc
; %bb.39:
	v_subrev_u32_e32 v11, s23, v11
	v_cmp_gt_u32_e32 vcc, s33, v11
	v_mov_b32_e32 v9, s28
	v_mov_b32_e32 v10, s29
	s_orn2_b64 s[2:3], vcc, exec
; %bb.40:
	s_or_b64 exec, exec, s[4:5]
	s_and_saveexec_b64 s[4:5], s[2:3]
	s_cbranch_execz .LBB18_42
; %bb.41:
	v_lshlrev_b64 v[9:10], 2, v[9:10]
	v_mov_b32_e32 v12, s17
	v_add_co_u32_e32 v9, vcc, s16, v9
	v_addc_co_u32_e32 v10, vcc, v12, v10, vcc
	v_lshlrev_b32_e32 v11, 2, v11
	v_add_co_u32_e32 v9, vcc, v9, v11
	v_addc_co_u32_e32 v10, vcc, 0, v10, vcc
	global_load_dword v9, v[9:10], off
	s_waitcnt vmcnt(0)
	ds_write_b32 v13, v9 offset:512
.LBB18_42:
	s_or_b64 exec, exec, s[4:5]
	v_or_b32_e32 v11, 0x100, v0
	v_mov_b32_e32 v9, s26
	v_cmp_le_u32_e32 vcc, s23, v11
	s_mov_b64 s[2:3], -1
	v_mov_b32_e32 v10, s27
	s_and_saveexec_b64 s[4:5], vcc
; %bb.43:
	v_subrev_u32_e32 v11, s23, v11
	v_cmp_gt_u32_e32 vcc, s33, v11
	v_mov_b32_e32 v9, s28
	v_mov_b32_e32 v10, s29
	s_orn2_b64 s[2:3], vcc, exec
; %bb.44:
	s_or_b64 exec, exec, s[4:5]
	s_and_saveexec_b64 s[4:5], s[2:3]
	s_cbranch_execz .LBB18_46
; %bb.45:
	v_lshlrev_b64 v[9:10], 2, v[9:10]
	v_mov_b32_e32 v12, s17
	v_add_co_u32_e32 v9, vcc, s16, v9
	v_addc_co_u32_e32 v10, vcc, v12, v10, vcc
	v_lshlrev_b32_e32 v11, 2, v11
	v_add_co_u32_e32 v9, vcc, v9, v11
	v_addc_co_u32_e32 v10, vcc, 0, v10, vcc
	global_load_dword v9, v[9:10], off
	s_waitcnt vmcnt(0)
	ds_write_b32 v13, v9 offset:1024
.LBB18_46:
	;; [unrolled: 29-line block ×6, first 2 shown]
	s_or_b64 exec, exec, s[4:5]
	v_or_b32_e32 v23, 0x380, v0
	v_mov_b32_e32 v10, s9
	v_cmp_le_u32_e32 vcc, s23, v23
	s_mov_b64 s[4:5], -1
	v_mov_b32_e32 v9, s8
	v_mov_b32_e32 v11, v23
	s_and_saveexec_b64 s[2:3], vcc
; %bb.63:
	v_subrev_u32_e32 v11, s23, v23
	v_cmp_gt_u32_e32 vcc, s33, v11
	v_mov_b32_e32 v10, s7
	v_mov_b32_e32 v9, s6
	s_orn2_b64 s[4:5], vcc, exec
; %bb.64:
	s_or_b64 exec, exec, s[2:3]
.LBB18_65:
	s_and_saveexec_b64 s[2:3], s[4:5]
	s_cbranch_execz .LBB18_67
; %bb.66:
	v_mov_b32_e32 v12, 0
	v_lshlrev_b64 v[11:12], 2, v[11:12]
	v_add_co_u32_e32 v9, vcc, v9, v11
	v_addc_co_u32_e32 v10, vcc, v10, v12, vcc
	global_load_dword v9, v[9:10], off
	v_lshlrev_b32_e32 v10, 2, v23
	s_waitcnt vmcnt(0)
	ds_write_b32 v10, v9
.LBB18_67:
	s_or_b64 exec, exec, s[2:3]
	s_and_b64 vcc, exec, s[0:1]
	v_add_u32_e32 v9, s22, v14
	s_waitcnt lgkmcnt(0)
	s_barrier
	s_cbranch_vccnz .LBB18_69
; %bb.68:
	v_lshlrev_b32_e32 v23, 2, v22
	v_lshlrev_b32_e32 v24, 2, v21
	;; [unrolled: 1-line block ×7, first 2 shown]
	v_mov_b32_e32 v10, 0
	ds_read_b32 v23, v23
	ds_read_b32 v24, v24
	;; [unrolled: 1-line block ×7, first 2 shown]
	v_lshlrev_b64 v[11:12], 2, v[9:10]
	v_mov_b32_e32 v30, s19
	v_add_co_u32_e32 v11, vcc, s18, v11
	v_addc_co_u32_e32 v12, vcc, v30, v12, vcc
	s_mov_b64 s[0:1], -1
	s_waitcnt lgkmcnt(3)
	global_store_dwordx4 v[11:12], v[23:26], off
	s_waitcnt lgkmcnt(0)
	global_store_dwordx3 v[11:12], v[27:29], off offset:16
	s_cbranch_execz .LBB18_70
	s_branch .LBB18_87
.LBB18_69:
	s_mov_b64 s[0:1], 0
.LBB18_70:
	v_cmp_gt_u32_e32 vcc, s21, v14
	s_and_saveexec_b64 s[2:3], vcc
	s_cbranch_execz .LBB18_72
; %bb.71:
	v_lshlrev_b32_e32 v12, 2, v22
	v_mov_b32_e32 v10, 0
	ds_read_b32 v12, v12
	v_lshlrev_b64 v[10:11], 2, v[9:10]
	v_mov_b32_e32 v22, s19
	v_add_co_u32_e32 v10, vcc, s18, v10
	v_addc_co_u32_e32 v11, vcc, v22, v11, vcc
	s_waitcnt lgkmcnt(0)
	global_store_dword v[10:11], v12, off
.LBB18_72:
	s_or_b64 exec, exec, s[2:3]
	v_or_b32_e32 v10, 1, v14
	v_cmp_gt_u32_e32 vcc, s21, v10
	s_and_saveexec_b64 s[2:3], vcc
	s_cbranch_execz .LBB18_74
; %bb.73:
	v_lshlrev_b32_e32 v12, 2, v21
	v_mov_b32_e32 v10, 0
	ds_read_b32 v12, v12
	v_lshlrev_b64 v[10:11], 2, v[9:10]
	v_mov_b32_e32 v21, s19
	v_add_co_u32_e32 v10, vcc, s18, v10
	v_addc_co_u32_e32 v11, vcc, v21, v11, vcc
	s_waitcnt lgkmcnt(0)
	global_store_dword v[10:11], v12, off offset:4
.LBB18_74:
	s_or_b64 exec, exec, s[2:3]
	v_or_b32_e32 v10, 2, v14
	v_cmp_gt_u32_e32 vcc, s21, v10
	s_and_saveexec_b64 s[2:3], vcc
	s_cbranch_execz .LBB18_76
; %bb.75:
	v_lshlrev_b32_e32 v12, 2, v20
	v_mov_b32_e32 v10, 0
	ds_read_b32 v12, v12
	v_lshlrev_b64 v[10:11], 2, v[9:10]
	v_mov_b32_e32 v20, s19
	v_add_co_u32_e32 v10, vcc, s18, v10
	v_addc_co_u32_e32 v11, vcc, v20, v11, vcc
	s_waitcnt lgkmcnt(0)
	global_store_dword v[10:11], v12, off offset:8
.LBB18_76:
	s_or_b64 exec, exec, s[2:3]
	v_or_b32_e32 v10, 3, v14
	v_cmp_gt_u32_e32 vcc, s21, v10
	s_and_saveexec_b64 s[2:3], vcc
	s_cbranch_execz .LBB18_78
; %bb.77:
	v_lshlrev_b32_e32 v12, 2, v19
	v_mov_b32_e32 v10, 0
	ds_read_b32 v12, v12
	v_lshlrev_b64 v[10:11], 2, v[9:10]
	v_mov_b32_e32 v19, s19
	v_add_co_u32_e32 v10, vcc, s18, v10
	v_addc_co_u32_e32 v11, vcc, v19, v11, vcc
	s_waitcnt lgkmcnt(0)
	global_store_dword v[10:11], v12, off offset:12
.LBB18_78:
	s_or_b64 exec, exec, s[2:3]
	v_or_b32_e32 v10, 4, v14
	v_cmp_gt_u32_e32 vcc, s21, v10
	s_and_saveexec_b64 s[2:3], vcc
	s_cbranch_execz .LBB18_80
; %bb.79:
	v_lshlrev_b32_e32 v12, 2, v18
	v_mov_b32_e32 v10, 0
	ds_read_b32 v12, v12
	v_lshlrev_b64 v[10:11], 2, v[9:10]
	v_mov_b32_e32 v18, s19
	v_add_co_u32_e32 v10, vcc, s18, v10
	v_addc_co_u32_e32 v11, vcc, v18, v11, vcc
	s_waitcnt lgkmcnt(0)
	global_store_dword v[10:11], v12, off offset:16
.LBB18_80:
	s_or_b64 exec, exec, s[2:3]
	v_or_b32_e32 v10, 5, v14
	v_cmp_gt_u32_e32 vcc, s21, v10
	s_and_saveexec_b64 s[2:3], vcc
	s_cbranch_execz .LBB18_82
; %bb.81:
	v_lshlrev_b32_e32 v12, 2, v17
	v_mov_b32_e32 v10, 0
	ds_read_b32 v12, v12
	v_lshlrev_b64 v[10:11], 2, v[9:10]
	v_mov_b32_e32 v17, s19
	v_add_co_u32_e32 v10, vcc, s18, v10
	v_addc_co_u32_e32 v11, vcc, v17, v11, vcc
	s_waitcnt lgkmcnt(0)
	global_store_dword v[10:11], v12, off offset:20
.LBB18_82:
	s_or_b64 exec, exec, s[2:3]
	v_or_b32_e32 v10, 6, v14
	v_cmp_gt_u32_e32 vcc, s21, v10
	s_and_saveexec_b64 s[2:3], vcc
	s_cbranch_execz .LBB18_84
; %bb.83:
	v_lshlrev_b32_e32 v12, 2, v16
	v_mov_b32_e32 v10, 0
	ds_read_b32 v12, v12
	v_lshlrev_b64 v[10:11], 2, v[9:10]
	v_mov_b32_e32 v16, s19
	v_add_co_u32_e32 v10, vcc, s18, v10
	v_addc_co_u32_e32 v11, vcc, v16, v11, vcc
	s_waitcnt lgkmcnt(0)
	global_store_dword v[10:11], v12, off offset:24
.LBB18_84:
	s_or_b64 exec, exec, s[2:3]
	v_or_b32_e32 v10, 7, v14
	v_cmp_gt_u32_e32 vcc, s21, v10
	s_and_saveexec_b64 s[2:3], vcc
; %bb.85:
	v_mov_b32_e32 v10, 0
	s_or_b64 s[0:1], s[0:1], exec
; %bb.86:
	s_or_b64 exec, exec, s[2:3]
.LBB18_87:
	s_and_saveexec_b64 s[2:3], s[0:1]
	s_cbranch_execz .LBB18_89
; %bb.88:
	v_lshlrev_b32_e32 v11, 2, v15
	ds_read_b32 v11, v11
	v_lshlrev_b64 v[9:10], 2, v[9:10]
	v_mov_b32_e32 v12, s19
	v_add_co_u32_e32 v9, vcc, s18, v9
	v_addc_co_u32_e32 v10, vcc, v12, v10, vcc
	s_waitcnt lgkmcnt(0)
	global_store_dword v[9:10], v11, off offset:28
.LBB18_89:
	s_or_b64 exec, exec, s[2:3]
	v_and_b32_e32 v9, 0x7c, v0
	v_lshl_add_u32 v9, v14, 2, v9
	s_waitcnt vmcnt(0)
	s_barrier
	s_barrier
	ds_write2_b32 v9, v1, v2 offset1:1
	ds_write2_b32 v9, v3, v4 offset0:2 offset1:3
	ds_write2_b32 v9, v5, v6 offset0:4 offset1:5
	ds_write2_b32 v9, v7, v8 offset0:6 offset1:7
	v_lshrrev_b32_e32 v1, 3, v0
	v_and_b32_e32 v1, 12, v1
	v_or_b32_e32 v10, 0x80, v0
	v_add_u32_e32 v11, v1, v13
	v_lshrrev_b32_e32 v1, 3, v10
	v_and_b32_e32 v1, 28, v1
	v_or_b32_e32 v9, 0x100, v0
	v_add_u32_e32 v12, v1, v13
	;; [unrolled: 4-line block ×5, first 2 shown]
	v_lshrrev_b32_e32 v1, 3, v5
	v_and_b32_e32 v1, 0x5c, v1
	v_or_b32_e32 v4, 0x300, v0
	s_mov_b32 s23, 0
	v_add_u32_e32 v17, v1, v13
	v_lshrrev_b32_e32 v1, 3, v4
	s_lshl_b64 s[0:1], s[22:23], 2
	v_and_b32_e32 v1, 0x6c, v1
	v_or_b32_e32 v3, 0x380, v0
	s_add_u32 s0, s14, s0
	v_add_u32_e32 v18, v1, v13
	v_lshrrev_b32_e32 v1, 3, v3
	s_addc_u32 s1, s15, s1
	v_and_b32_e32 v1, 0x7c, v1
	v_add_u32_e32 v19, v1, v13
	v_mov_b32_e32 v2, s1
	v_add_co_u32_e32 v1, vcc, s0, v13
	v_addc_co_u32_e32 v2, vcc, 0, v2, vcc
	s_and_b64 vcc, exec, s[24:25]
	s_waitcnt lgkmcnt(0)
	s_cbranch_vccz .LBB18_91
; %bb.90:
	s_barrier
	ds_read_b32 v13, v11
	ds_read_b32 v20, v12 offset:512
	ds_read_b32 v21, v14 offset:1024
	;; [unrolled: 1-line block ×7, first 2 shown]
	s_waitcnt lgkmcnt(7)
	global_store_dword v[1:2], v13, off
	s_waitcnt lgkmcnt(6)
	global_store_dword v[1:2], v20, off offset:512
	s_waitcnt lgkmcnt(5)
	global_store_dword v[1:2], v21, off offset:1024
	;; [unrolled: 2-line block ×6, first 2 shown]
	s_mov_b64 s[0:1], -1
	s_cbranch_execz .LBB18_92
	s_branch .LBB18_101
.LBB18_91:
	s_mov_b64 s[0:1], 0
                                        ; implicit-def: $vgpr7
.LBB18_92:
	s_waitcnt vmcnt(0) lgkmcnt(0)
	s_barrier
	ds_read_b32 v21, v12 offset:512
	ds_read_b32 v20, v14 offset:1024
	;; [unrolled: 1-line block ×7, first 2 shown]
	s_sub_i32 s2, s20, s22
	v_cmp_gt_u32_e32 vcc, s2, v0
	s_and_saveexec_b64 s[0:1], vcc
	s_cbranch_execnz .LBB18_108
; %bb.93:
	s_or_b64 exec, exec, s[0:1]
	v_cmp_gt_u32_e32 vcc, s2, v10
	s_and_saveexec_b64 s[0:1], vcc
	s_cbranch_execnz .LBB18_109
.LBB18_94:
	s_or_b64 exec, exec, s[0:1]
	v_cmp_gt_u32_e32 vcc, s2, v9
	s_and_saveexec_b64 s[0:1], vcc
	s_cbranch_execnz .LBB18_110
.LBB18_95:
	s_or_b64 exec, exec, s[0:1]
	v_cmp_gt_u32_e32 vcc, s2, v8
	s_and_saveexec_b64 s[0:1], vcc
	s_cbranch_execnz .LBB18_111
.LBB18_96:
	s_or_b64 exec, exec, s[0:1]
	v_cmp_gt_u32_e32 vcc, s2, v6
	s_and_saveexec_b64 s[0:1], vcc
	s_cbranch_execnz .LBB18_112
.LBB18_97:
	s_or_b64 exec, exec, s[0:1]
	v_cmp_gt_u32_e32 vcc, s2, v5
	s_and_saveexec_b64 s[0:1], vcc
	s_cbranch_execnz .LBB18_113
.LBB18_98:
	s_or_b64 exec, exec, s[0:1]
	v_cmp_gt_u32_e32 vcc, s2, v4
	s_and_saveexec_b64 s[0:1], vcc
	s_cbranch_execz .LBB18_100
.LBB18_99:
	s_waitcnt lgkmcnt(1)
	global_store_dword v[1:2], v12, off offset:3072
.LBB18_100:
	s_or_b64 exec, exec, s[0:1]
	v_cmp_gt_u32_e64 s[0:1], s2, v3
.LBB18_101:
	s_and_saveexec_b64 s[2:3], s[0:1]
	s_cbranch_execz .LBB18_103
; %bb.102:
	s_waitcnt lgkmcnt(0)
	global_store_dword v[1:2], v7, off offset:3584
.LBB18_103:
	s_endpgm
.LBB18_104:
	v_subrev_u32_e32 v11, s23, v0
	v_cmp_gt_u32_e32 vcc, s33, v11
                                        ; implicit-def: $vgpr9_vgpr10
	s_and_saveexec_b64 s[10:11], vcc
	s_xor_b64 s[10:11], exec, s[10:11]
; %bb.105:
	v_lshlrev_b32_e32 v9, 2, v11
	v_mov_b32_e32 v10, s7
	v_add_co_u32_e32 v9, vcc, s6, v9
	s_mov_b64 s[4:5], exec
	v_addc_co_u32_e32 v10, vcc, 0, v10, vcc
; %bb.106:
	s_or_b64 exec, exec, s[10:11]
	s_and_b64 s[4:5], s[4:5], exec
	s_andn2_saveexec_b64 s[2:3], s[2:3]
	s_cbranch_execz .LBB18_36
.LBB18_107:
	v_mov_b32_e32 v10, s9
	v_add_co_u32_e32 v9, vcc, s8, v13
	v_addc_co_u32_e32 v10, vcc, 0, v10, vcc
	s_or_b64 s[4:5], s[4:5], exec
	s_or_b64 exec, exec, s[2:3]
	s_and_saveexec_b64 s[2:3], s[4:5]
	s_cbranch_execnz .LBB18_37
	s_branch .LBB18_38
.LBB18_108:
	ds_read_b32 v0, v11
	s_waitcnt lgkmcnt(0)
	global_store_dword v[1:2], v0, off
	s_or_b64 exec, exec, s[0:1]
	v_cmp_gt_u32_e32 vcc, s2, v10
	s_and_saveexec_b64 s[0:1], vcc
	s_cbranch_execz .LBB18_94
.LBB18_109:
	s_waitcnt lgkmcnt(6)
	global_store_dword v[1:2], v21, off offset:512
	s_or_b64 exec, exec, s[0:1]
	v_cmp_gt_u32_e32 vcc, s2, v9
	s_and_saveexec_b64 s[0:1], vcc
	s_cbranch_execz .LBB18_95
.LBB18_110:
	s_waitcnt lgkmcnt(5)
	global_store_dword v[1:2], v20, off offset:1024
	s_or_b64 exec, exec, s[0:1]
	v_cmp_gt_u32_e32 vcc, s2, v8
	s_and_saveexec_b64 s[0:1], vcc
	s_cbranch_execz .LBB18_96
.LBB18_111:
	s_waitcnt lgkmcnt(4)
	global_store_dword v[1:2], v15, off offset:1536
	s_or_b64 exec, exec, s[0:1]
	v_cmp_gt_u32_e32 vcc, s2, v6
	s_and_saveexec_b64 s[0:1], vcc
	s_cbranch_execz .LBB18_97
.LBB18_112:
	s_waitcnt lgkmcnt(3)
	global_store_dword v[1:2], v14, off offset:2048
	s_or_b64 exec, exec, s[0:1]
	v_cmp_gt_u32_e32 vcc, s2, v5
	s_and_saveexec_b64 s[0:1], vcc
	s_cbranch_execz .LBB18_98
.LBB18_113:
	s_waitcnt lgkmcnt(2)
	global_store_dword v[1:2], v13, off offset:2560
	s_or_b64 exec, exec, s[0:1]
	v_cmp_gt_u32_e32 vcc, s2, v4
	s_and_saveexec_b64 s[0:1], vcc
	s_cbranch_execnz .LBB18_99
	s_branch .LBB18_100
	.section	.rodata,"a",@progbits
	.p2align	6, 0x0
	.amdhsa_kernel _ZN7rocprim17ROCPRIM_304000_NS6detail35device_block_merge_mergepath_kernelINS1_37wrapped_merge_sort_block_merge_configINS0_14default_configEiN2at4cuda3cub6detail10OpaqueTypeILi4EEEEEPiSC_PSA_SD_jNS1_19radix_merge_compareILb0ELb0EiNS0_19identity_decomposerEEEEEvT0_T1_T2_T3_T4_SL_jT5_PKSL_NS1_7vsmem_tE
		.amdhsa_group_segment_fixed_size 4224
		.amdhsa_private_segment_fixed_size 0
		.amdhsa_kernarg_size 320
		.amdhsa_user_sgpr_count 6
		.amdhsa_user_sgpr_private_segment_buffer 1
		.amdhsa_user_sgpr_dispatch_ptr 0
		.amdhsa_user_sgpr_queue_ptr 0
		.amdhsa_user_sgpr_kernarg_segment_ptr 1
		.amdhsa_user_sgpr_dispatch_id 0
		.amdhsa_user_sgpr_flat_scratch_init 0
		.amdhsa_user_sgpr_private_segment_size 0
		.amdhsa_uses_dynamic_stack 0
		.amdhsa_system_sgpr_private_segment_wavefront_offset 0
		.amdhsa_system_sgpr_workgroup_id_x 1
		.amdhsa_system_sgpr_workgroup_id_y 1
		.amdhsa_system_sgpr_workgroup_id_z 1
		.amdhsa_system_sgpr_workgroup_info 0
		.amdhsa_system_vgpr_workitem_id 0
		.amdhsa_next_free_vgpr 32
		.amdhsa_next_free_sgpr 61
		.amdhsa_reserve_vcc 1
		.amdhsa_reserve_flat_scratch 0
		.amdhsa_float_round_mode_32 0
		.amdhsa_float_round_mode_16_64 0
		.amdhsa_float_denorm_mode_32 3
		.amdhsa_float_denorm_mode_16_64 3
		.amdhsa_dx10_clamp 1
		.amdhsa_ieee_mode 1
		.amdhsa_fp16_overflow 0
		.amdhsa_exception_fp_ieee_invalid_op 0
		.amdhsa_exception_fp_denorm_src 0
		.amdhsa_exception_fp_ieee_div_zero 0
		.amdhsa_exception_fp_ieee_overflow 0
		.amdhsa_exception_fp_ieee_underflow 0
		.amdhsa_exception_fp_ieee_inexact 0
		.amdhsa_exception_int_div_zero 0
	.end_amdhsa_kernel
	.section	.text._ZN7rocprim17ROCPRIM_304000_NS6detail35device_block_merge_mergepath_kernelINS1_37wrapped_merge_sort_block_merge_configINS0_14default_configEiN2at4cuda3cub6detail10OpaqueTypeILi4EEEEEPiSC_PSA_SD_jNS1_19radix_merge_compareILb0ELb0EiNS0_19identity_decomposerEEEEEvT0_T1_T2_T3_T4_SL_jT5_PKSL_NS1_7vsmem_tE,"axG",@progbits,_ZN7rocprim17ROCPRIM_304000_NS6detail35device_block_merge_mergepath_kernelINS1_37wrapped_merge_sort_block_merge_configINS0_14default_configEiN2at4cuda3cub6detail10OpaqueTypeILi4EEEEEPiSC_PSA_SD_jNS1_19radix_merge_compareILb0ELb0EiNS0_19identity_decomposerEEEEEvT0_T1_T2_T3_T4_SL_jT5_PKSL_NS1_7vsmem_tE,comdat
.Lfunc_end18:
	.size	_ZN7rocprim17ROCPRIM_304000_NS6detail35device_block_merge_mergepath_kernelINS1_37wrapped_merge_sort_block_merge_configINS0_14default_configEiN2at4cuda3cub6detail10OpaqueTypeILi4EEEEEPiSC_PSA_SD_jNS1_19radix_merge_compareILb0ELb0EiNS0_19identity_decomposerEEEEEvT0_T1_T2_T3_T4_SL_jT5_PKSL_NS1_7vsmem_tE, .Lfunc_end18-_ZN7rocprim17ROCPRIM_304000_NS6detail35device_block_merge_mergepath_kernelINS1_37wrapped_merge_sort_block_merge_configINS0_14default_configEiN2at4cuda3cub6detail10OpaqueTypeILi4EEEEEPiSC_PSA_SD_jNS1_19radix_merge_compareILb0ELb0EiNS0_19identity_decomposerEEEEEvT0_T1_T2_T3_T4_SL_jT5_PKSL_NS1_7vsmem_tE
                                        ; -- End function
	.set _ZN7rocprim17ROCPRIM_304000_NS6detail35device_block_merge_mergepath_kernelINS1_37wrapped_merge_sort_block_merge_configINS0_14default_configEiN2at4cuda3cub6detail10OpaqueTypeILi4EEEEEPiSC_PSA_SD_jNS1_19radix_merge_compareILb0ELb0EiNS0_19identity_decomposerEEEEEvT0_T1_T2_T3_T4_SL_jT5_PKSL_NS1_7vsmem_tE.num_vgpr, 32
	.set _ZN7rocprim17ROCPRIM_304000_NS6detail35device_block_merge_mergepath_kernelINS1_37wrapped_merge_sort_block_merge_configINS0_14default_configEiN2at4cuda3cub6detail10OpaqueTypeILi4EEEEEPiSC_PSA_SD_jNS1_19radix_merge_compareILb0ELb0EiNS0_19identity_decomposerEEEEEvT0_T1_T2_T3_T4_SL_jT5_PKSL_NS1_7vsmem_tE.num_agpr, 0
	.set _ZN7rocprim17ROCPRIM_304000_NS6detail35device_block_merge_mergepath_kernelINS1_37wrapped_merge_sort_block_merge_configINS0_14default_configEiN2at4cuda3cub6detail10OpaqueTypeILi4EEEEEPiSC_PSA_SD_jNS1_19radix_merge_compareILb0ELb0EiNS0_19identity_decomposerEEEEEvT0_T1_T2_T3_T4_SL_jT5_PKSL_NS1_7vsmem_tE.numbered_sgpr, 38
	.set _ZN7rocprim17ROCPRIM_304000_NS6detail35device_block_merge_mergepath_kernelINS1_37wrapped_merge_sort_block_merge_configINS0_14default_configEiN2at4cuda3cub6detail10OpaqueTypeILi4EEEEEPiSC_PSA_SD_jNS1_19radix_merge_compareILb0ELb0EiNS0_19identity_decomposerEEEEEvT0_T1_T2_T3_T4_SL_jT5_PKSL_NS1_7vsmem_tE.num_named_barrier, 0
	.set _ZN7rocprim17ROCPRIM_304000_NS6detail35device_block_merge_mergepath_kernelINS1_37wrapped_merge_sort_block_merge_configINS0_14default_configEiN2at4cuda3cub6detail10OpaqueTypeILi4EEEEEPiSC_PSA_SD_jNS1_19radix_merge_compareILb0ELb0EiNS0_19identity_decomposerEEEEEvT0_T1_T2_T3_T4_SL_jT5_PKSL_NS1_7vsmem_tE.private_seg_size, 0
	.set _ZN7rocprim17ROCPRIM_304000_NS6detail35device_block_merge_mergepath_kernelINS1_37wrapped_merge_sort_block_merge_configINS0_14default_configEiN2at4cuda3cub6detail10OpaqueTypeILi4EEEEEPiSC_PSA_SD_jNS1_19radix_merge_compareILb0ELb0EiNS0_19identity_decomposerEEEEEvT0_T1_T2_T3_T4_SL_jT5_PKSL_NS1_7vsmem_tE.uses_vcc, 1
	.set _ZN7rocprim17ROCPRIM_304000_NS6detail35device_block_merge_mergepath_kernelINS1_37wrapped_merge_sort_block_merge_configINS0_14default_configEiN2at4cuda3cub6detail10OpaqueTypeILi4EEEEEPiSC_PSA_SD_jNS1_19radix_merge_compareILb0ELb0EiNS0_19identity_decomposerEEEEEvT0_T1_T2_T3_T4_SL_jT5_PKSL_NS1_7vsmem_tE.uses_flat_scratch, 0
	.set _ZN7rocprim17ROCPRIM_304000_NS6detail35device_block_merge_mergepath_kernelINS1_37wrapped_merge_sort_block_merge_configINS0_14default_configEiN2at4cuda3cub6detail10OpaqueTypeILi4EEEEEPiSC_PSA_SD_jNS1_19radix_merge_compareILb0ELb0EiNS0_19identity_decomposerEEEEEvT0_T1_T2_T3_T4_SL_jT5_PKSL_NS1_7vsmem_tE.has_dyn_sized_stack, 0
	.set _ZN7rocprim17ROCPRIM_304000_NS6detail35device_block_merge_mergepath_kernelINS1_37wrapped_merge_sort_block_merge_configINS0_14default_configEiN2at4cuda3cub6detail10OpaqueTypeILi4EEEEEPiSC_PSA_SD_jNS1_19radix_merge_compareILb0ELb0EiNS0_19identity_decomposerEEEEEvT0_T1_T2_T3_T4_SL_jT5_PKSL_NS1_7vsmem_tE.has_recursion, 0
	.set _ZN7rocprim17ROCPRIM_304000_NS6detail35device_block_merge_mergepath_kernelINS1_37wrapped_merge_sort_block_merge_configINS0_14default_configEiN2at4cuda3cub6detail10OpaqueTypeILi4EEEEEPiSC_PSA_SD_jNS1_19radix_merge_compareILb0ELb0EiNS0_19identity_decomposerEEEEEvT0_T1_T2_T3_T4_SL_jT5_PKSL_NS1_7vsmem_tE.has_indirect_call, 0
	.section	.AMDGPU.csdata,"",@progbits
; Kernel info:
; codeLenInByte = 5940
; TotalNumSgprs: 42
; NumVgprs: 32
; ScratchSize: 0
; MemoryBound: 0
; FloatMode: 240
; IeeeMode: 1
; LDSByteSize: 4224 bytes/workgroup (compile time only)
; SGPRBlocks: 8
; VGPRBlocks: 7
; NumSGPRsForWavesPerEU: 65
; NumVGPRsForWavesPerEU: 32
; Occupancy: 8
; WaveLimiterHint : 1
; COMPUTE_PGM_RSRC2:SCRATCH_EN: 0
; COMPUTE_PGM_RSRC2:USER_SGPR: 6
; COMPUTE_PGM_RSRC2:TRAP_HANDLER: 0
; COMPUTE_PGM_RSRC2:TGID_X_EN: 1
; COMPUTE_PGM_RSRC2:TGID_Y_EN: 1
; COMPUTE_PGM_RSRC2:TGID_Z_EN: 1
; COMPUTE_PGM_RSRC2:TIDIG_COMP_CNT: 0
	.section	.text._ZN7rocprim17ROCPRIM_304000_NS6detail33device_block_merge_oddeven_kernelINS1_37wrapped_merge_sort_block_merge_configINS0_14default_configEiN2at4cuda3cub6detail10OpaqueTypeILi4EEEEEPiSC_PSA_SD_jNS1_19radix_merge_compareILb0ELb0EiNS0_19identity_decomposerEEEEEvT0_T1_T2_T3_T4_SL_T5_,"axG",@progbits,_ZN7rocprim17ROCPRIM_304000_NS6detail33device_block_merge_oddeven_kernelINS1_37wrapped_merge_sort_block_merge_configINS0_14default_configEiN2at4cuda3cub6detail10OpaqueTypeILi4EEEEEPiSC_PSA_SD_jNS1_19radix_merge_compareILb0ELb0EiNS0_19identity_decomposerEEEEEvT0_T1_T2_T3_T4_SL_T5_,comdat
	.protected	_ZN7rocprim17ROCPRIM_304000_NS6detail33device_block_merge_oddeven_kernelINS1_37wrapped_merge_sort_block_merge_configINS0_14default_configEiN2at4cuda3cub6detail10OpaqueTypeILi4EEEEEPiSC_PSA_SD_jNS1_19radix_merge_compareILb0ELb0EiNS0_19identity_decomposerEEEEEvT0_T1_T2_T3_T4_SL_T5_ ; -- Begin function _ZN7rocprim17ROCPRIM_304000_NS6detail33device_block_merge_oddeven_kernelINS1_37wrapped_merge_sort_block_merge_configINS0_14default_configEiN2at4cuda3cub6detail10OpaqueTypeILi4EEEEEPiSC_PSA_SD_jNS1_19radix_merge_compareILb0ELb0EiNS0_19identity_decomposerEEEEEvT0_T1_T2_T3_T4_SL_T5_
	.globl	_ZN7rocprim17ROCPRIM_304000_NS6detail33device_block_merge_oddeven_kernelINS1_37wrapped_merge_sort_block_merge_configINS0_14default_configEiN2at4cuda3cub6detail10OpaqueTypeILi4EEEEEPiSC_PSA_SD_jNS1_19radix_merge_compareILb0ELb0EiNS0_19identity_decomposerEEEEEvT0_T1_T2_T3_T4_SL_T5_
	.p2align	8
	.type	_ZN7rocprim17ROCPRIM_304000_NS6detail33device_block_merge_oddeven_kernelINS1_37wrapped_merge_sort_block_merge_configINS0_14default_configEiN2at4cuda3cub6detail10OpaqueTypeILi4EEEEEPiSC_PSA_SD_jNS1_19radix_merge_compareILb0ELb0EiNS0_19identity_decomposerEEEEEvT0_T1_T2_T3_T4_SL_T5_,@function
_ZN7rocprim17ROCPRIM_304000_NS6detail33device_block_merge_oddeven_kernelINS1_37wrapped_merge_sort_block_merge_configINS0_14default_configEiN2at4cuda3cub6detail10OpaqueTypeILi4EEEEEPiSC_PSA_SD_jNS1_19radix_merge_compareILb0ELb0EiNS0_19identity_decomposerEEEEEvT0_T1_T2_T3_T4_SL_T5_: ; @_ZN7rocprim17ROCPRIM_304000_NS6detail33device_block_merge_oddeven_kernelINS1_37wrapped_merge_sort_block_merge_configINS0_14default_configEiN2at4cuda3cub6detail10OpaqueTypeILi4EEEEEPiSC_PSA_SD_jNS1_19radix_merge_compareILb0ELb0EiNS0_19identity_decomposerEEEEEvT0_T1_T2_T3_T4_SL_T5_
; %bb.0:
	s_load_dwordx2 s[18:19], s[4:5], 0x20
	s_waitcnt lgkmcnt(0)
	s_lshr_b32 s0, s18, 8
	s_cmp_eq_u32 s6, s0
	s_cselect_b64 s[16:17], -1, 0
	s_cmp_lg_u32 s6, s0
	s_cselect_b64 s[0:1], -1, 0
	s_lshl_b32 s20, s6, 8
	s_sub_i32 s2, s18, s20
	v_cmp_gt_u32_e64 s[2:3], s2, v0
	s_or_b64 s[0:1], s[0:1], s[2:3]
	s_and_saveexec_b64 s[8:9], s[0:1]
	s_cbranch_execz .LBB19_24
; %bb.1:
	s_load_dwordx8 s[8:15], s[4:5], 0x0
	s_mov_b32 s21, 0
	s_lshl_b64 s[0:1], s[20:21], 2
	v_lshlrev_b32_e32 v1, 2, v0
	v_add_u32_e32 v0, s20, v0
	s_waitcnt lgkmcnt(0)
	s_add_u32 s4, s8, s0
	s_addc_u32 s5, s9, s1
	s_add_u32 s0, s12, s0
	s_addc_u32 s1, s13, s1
	global_load_dword v2, v1, s[0:1]
	global_load_dword v3, v1, s[4:5]
	s_lshr_b32 s0, s19, 8
	s_sub_i32 s1, 0, s0
	s_and_b32 s1, s6, s1
	s_and_b32 s0, s1, s0
	s_lshl_b32 s13, s1, 8
	s_sub_i32 s6, 0, s19
	s_cmp_eq_u32 s0, 0
	s_cselect_b64 s[0:1], -1, 0
	s_and_b64 s[4:5], s[0:1], exec
	s_cselect_b32 s6, s19, s6
	s_add_i32 s6, s6, s13
	s_mov_b64 s[4:5], -1
	s_cmp_gt_u32 s18, s6
	s_cbranch_scc1 .LBB19_9
; %bb.2:
	s_and_b64 vcc, exec, s[16:17]
	s_cbranch_vccz .LBB19_6
; %bb.3:
	v_cmp_gt_u32_e32 vcc, s18, v0
	s_and_saveexec_b64 s[4:5], vcc
	s_cbranch_execz .LBB19_5
; %bb.4:
	v_mov_b32_e32 v1, 0
	v_lshlrev_b64 v[4:5], 2, v[0:1]
	v_mov_b32_e32 v1, s15
	v_add_co_u32_e32 v6, vcc, s14, v4
	v_addc_co_u32_e32 v7, vcc, v1, v5, vcc
	v_mov_b32_e32 v1, s11
	v_add_co_u32_e32 v4, vcc, s10, v4
	v_addc_co_u32_e32 v5, vcc, v1, v5, vcc
	s_waitcnt vmcnt(0)
	global_store_dword v[4:5], v3, off
	global_store_dword v[6:7], v2, off
.LBB19_5:
	s_or_b64 exec, exec, s[4:5]
	s_mov_b64 s[4:5], 0
.LBB19_6:
	s_andn2_b64 vcc, exec, s[4:5]
	s_cbranch_vccnz .LBB19_8
; %bb.7:
	v_mov_b32_e32 v1, 0
	v_lshlrev_b64 v[4:5], 2, v[0:1]
	v_mov_b32_e32 v1, s11
	v_add_co_u32_e32 v6, vcc, s10, v4
	v_addc_co_u32_e32 v7, vcc, v1, v5, vcc
	v_mov_b32_e32 v1, s15
	v_add_co_u32_e32 v4, vcc, s14, v4
	v_addc_co_u32_e32 v5, vcc, v1, v5, vcc
	s_waitcnt vmcnt(0)
	global_store_dword v[6:7], v3, off
	global_store_dword v[4:5], v2, off
.LBB19_8:
	s_mov_b64 s[4:5], 0
.LBB19_9:
	s_andn2_b64 vcc, exec, s[4:5]
	s_cbranch_vccnz .LBB19_24
; %bb.10:
	s_min_u32 s7, s6, s18
	s_add_i32 s4, s7, s19
	s_min_u32 s12, s4, s18
	s_min_u32 s4, s13, s7
	s_add_i32 s13, s13, s7
	v_subrev_u32_e32 v0, s13, v0
	v_add_u32_e32 v4, s4, v0
	s_andn2_b64 vcc, exec, s[16:17]
	s_mov_b64 s[4:5], -1
	s_cbranch_vccnz .LBB19_18
; %bb.11:
	s_and_saveexec_b64 s[4:5], s[2:3]
	s_cbranch_execz .LBB19_17
; %bb.12:
	s_cmp_ge_u32 s6, s12
	v_mov_b32_e32 v5, s7
	s_cbranch_scc1 .LBB19_16
; %bb.13:
	s_mov_b64 s[2:3], 0
	v_mov_b32_e32 v6, s12
	v_mov_b32_e32 v5, s7
	;; [unrolled: 1-line block ×4, first 2 shown]
.LBB19_14:                              ; =>This Inner Loop Header: Depth=1
	v_add_u32_e32 v0, v5, v6
	v_lshrrev_b32_e32 v0, 1, v0
	v_lshlrev_b64 v[8:9], 2, v[0:1]
	v_add_co_u32_e32 v8, vcc, s8, v8
	v_addc_co_u32_e32 v9, vcc, v7, v9, vcc
	global_load_dword v8, v[8:9], off
	v_add_u32_e32 v9, 1, v0
	s_waitcnt vmcnt(0)
	v_cmp_gt_i32_e32 vcc, v3, v8
	v_cndmask_b32_e64 v10, 0, 1, vcc
	v_cmp_le_i32_e32 vcc, v8, v3
	v_cndmask_b32_e64 v8, 0, 1, vcc
	v_cndmask_b32_e64 v8, v8, v10, s[0:1]
	v_and_b32_e32 v8, 1, v8
	v_cmp_eq_u32_e32 vcc, 1, v8
	v_cndmask_b32_e32 v6, v0, v6, vcc
	v_cndmask_b32_e32 v5, v5, v9, vcc
	v_cmp_ge_u32_e32 vcc, v5, v6
	s_or_b64 s[2:3], vcc, s[2:3]
	s_andn2_b64 exec, exec, s[2:3]
	s_cbranch_execnz .LBB19_14
; %bb.15:
	s_or_b64 exec, exec, s[2:3]
.LBB19_16:
	v_add_u32_e32 v0, v5, v4
	v_mov_b32_e32 v1, 0
	v_lshlrev_b64 v[0:1], 2, v[0:1]
	v_mov_b32_e32 v6, s11
	v_add_co_u32_e32 v5, vcc, s10, v0
	v_addc_co_u32_e32 v6, vcc, v6, v1, vcc
	s_waitcnt vmcnt(0)
	global_store_dword v[5:6], v3, off
	v_mov_b32_e32 v5, s15
	v_add_co_u32_e32 v0, vcc, s14, v0
	v_addc_co_u32_e32 v1, vcc, v5, v1, vcc
	global_store_dword v[0:1], v2, off
.LBB19_17:
	s_or_b64 exec, exec, s[4:5]
	s_mov_b64 s[4:5], 0
.LBB19_18:
	s_andn2_b64 vcc, exec, s[4:5]
	s_cbranch_vccnz .LBB19_24
; %bb.19:
	s_cmp_ge_u32 s6, s12
	v_mov_b32_e32 v5, s7
	s_cbranch_scc1 .LBB19_23
; %bb.20:
	s_mov_b64 s[2:3], 0
	v_mov_b32_e32 v6, s12
	v_mov_b32_e32 v5, s7
	;; [unrolled: 1-line block ×4, first 2 shown]
.LBB19_21:                              ; =>This Inner Loop Header: Depth=1
	v_add_u32_e32 v0, v5, v6
	v_lshrrev_b32_e32 v0, 1, v0
	v_lshlrev_b64 v[8:9], 2, v[0:1]
	v_add_co_u32_e32 v8, vcc, s8, v8
	v_addc_co_u32_e32 v9, vcc, v7, v9, vcc
	global_load_dword v8, v[8:9], off
	v_add_u32_e32 v9, 1, v0
	s_waitcnt vmcnt(0)
	v_cmp_gt_i32_e32 vcc, v3, v8
	v_cndmask_b32_e64 v10, 0, 1, vcc
	v_cmp_le_i32_e32 vcc, v8, v3
	v_cndmask_b32_e64 v8, 0, 1, vcc
	v_cndmask_b32_e64 v8, v8, v10, s[0:1]
	v_and_b32_e32 v8, 1, v8
	v_cmp_eq_u32_e32 vcc, 1, v8
	v_cndmask_b32_e32 v6, v0, v6, vcc
	v_cndmask_b32_e32 v5, v5, v9, vcc
	v_cmp_ge_u32_e32 vcc, v5, v6
	s_or_b64 s[2:3], vcc, s[2:3]
	s_andn2_b64 exec, exec, s[2:3]
	s_cbranch_execnz .LBB19_21
; %bb.22:
	s_or_b64 exec, exec, s[2:3]
.LBB19_23:
	v_add_u32_e32 v0, v5, v4
	v_mov_b32_e32 v1, 0
	v_lshlrev_b64 v[0:1], 2, v[0:1]
	v_mov_b32_e32 v5, s11
	v_add_co_u32_e32 v4, vcc, s10, v0
	v_addc_co_u32_e32 v5, vcc, v5, v1, vcc
	s_waitcnt vmcnt(0)
	global_store_dword v[4:5], v3, off
	v_mov_b32_e32 v3, s15
	v_add_co_u32_e32 v0, vcc, s14, v0
	v_addc_co_u32_e32 v1, vcc, v3, v1, vcc
	global_store_dword v[0:1], v2, off
.LBB19_24:
	s_endpgm
	.section	.rodata,"a",@progbits
	.p2align	6, 0x0
	.amdhsa_kernel _ZN7rocprim17ROCPRIM_304000_NS6detail33device_block_merge_oddeven_kernelINS1_37wrapped_merge_sort_block_merge_configINS0_14default_configEiN2at4cuda3cub6detail10OpaqueTypeILi4EEEEEPiSC_PSA_SD_jNS1_19radix_merge_compareILb0ELb0EiNS0_19identity_decomposerEEEEEvT0_T1_T2_T3_T4_SL_T5_
		.amdhsa_group_segment_fixed_size 0
		.amdhsa_private_segment_fixed_size 0
		.amdhsa_kernarg_size 44
		.amdhsa_user_sgpr_count 6
		.amdhsa_user_sgpr_private_segment_buffer 1
		.amdhsa_user_sgpr_dispatch_ptr 0
		.amdhsa_user_sgpr_queue_ptr 0
		.amdhsa_user_sgpr_kernarg_segment_ptr 1
		.amdhsa_user_sgpr_dispatch_id 0
		.amdhsa_user_sgpr_flat_scratch_init 0
		.amdhsa_user_sgpr_private_segment_size 0
		.amdhsa_uses_dynamic_stack 0
		.amdhsa_system_sgpr_private_segment_wavefront_offset 0
		.amdhsa_system_sgpr_workgroup_id_x 1
		.amdhsa_system_sgpr_workgroup_id_y 0
		.amdhsa_system_sgpr_workgroup_id_z 0
		.amdhsa_system_sgpr_workgroup_info 0
		.amdhsa_system_vgpr_workitem_id 0
		.amdhsa_next_free_vgpr 11
		.amdhsa_next_free_sgpr 22
		.amdhsa_reserve_vcc 1
		.amdhsa_reserve_flat_scratch 0
		.amdhsa_float_round_mode_32 0
		.amdhsa_float_round_mode_16_64 0
		.amdhsa_float_denorm_mode_32 3
		.amdhsa_float_denorm_mode_16_64 3
		.amdhsa_dx10_clamp 1
		.amdhsa_ieee_mode 1
		.amdhsa_fp16_overflow 0
		.amdhsa_exception_fp_ieee_invalid_op 0
		.amdhsa_exception_fp_denorm_src 0
		.amdhsa_exception_fp_ieee_div_zero 0
		.amdhsa_exception_fp_ieee_overflow 0
		.amdhsa_exception_fp_ieee_underflow 0
		.amdhsa_exception_fp_ieee_inexact 0
		.amdhsa_exception_int_div_zero 0
	.end_amdhsa_kernel
	.section	.text._ZN7rocprim17ROCPRIM_304000_NS6detail33device_block_merge_oddeven_kernelINS1_37wrapped_merge_sort_block_merge_configINS0_14default_configEiN2at4cuda3cub6detail10OpaqueTypeILi4EEEEEPiSC_PSA_SD_jNS1_19radix_merge_compareILb0ELb0EiNS0_19identity_decomposerEEEEEvT0_T1_T2_T3_T4_SL_T5_,"axG",@progbits,_ZN7rocprim17ROCPRIM_304000_NS6detail33device_block_merge_oddeven_kernelINS1_37wrapped_merge_sort_block_merge_configINS0_14default_configEiN2at4cuda3cub6detail10OpaqueTypeILi4EEEEEPiSC_PSA_SD_jNS1_19radix_merge_compareILb0ELb0EiNS0_19identity_decomposerEEEEEvT0_T1_T2_T3_T4_SL_T5_,comdat
.Lfunc_end19:
	.size	_ZN7rocprim17ROCPRIM_304000_NS6detail33device_block_merge_oddeven_kernelINS1_37wrapped_merge_sort_block_merge_configINS0_14default_configEiN2at4cuda3cub6detail10OpaqueTypeILi4EEEEEPiSC_PSA_SD_jNS1_19radix_merge_compareILb0ELb0EiNS0_19identity_decomposerEEEEEvT0_T1_T2_T3_T4_SL_T5_, .Lfunc_end19-_ZN7rocprim17ROCPRIM_304000_NS6detail33device_block_merge_oddeven_kernelINS1_37wrapped_merge_sort_block_merge_configINS0_14default_configEiN2at4cuda3cub6detail10OpaqueTypeILi4EEEEEPiSC_PSA_SD_jNS1_19radix_merge_compareILb0ELb0EiNS0_19identity_decomposerEEEEEvT0_T1_T2_T3_T4_SL_T5_
                                        ; -- End function
	.set _ZN7rocprim17ROCPRIM_304000_NS6detail33device_block_merge_oddeven_kernelINS1_37wrapped_merge_sort_block_merge_configINS0_14default_configEiN2at4cuda3cub6detail10OpaqueTypeILi4EEEEEPiSC_PSA_SD_jNS1_19radix_merge_compareILb0ELb0EiNS0_19identity_decomposerEEEEEvT0_T1_T2_T3_T4_SL_T5_.num_vgpr, 11
	.set _ZN7rocprim17ROCPRIM_304000_NS6detail33device_block_merge_oddeven_kernelINS1_37wrapped_merge_sort_block_merge_configINS0_14default_configEiN2at4cuda3cub6detail10OpaqueTypeILi4EEEEEPiSC_PSA_SD_jNS1_19radix_merge_compareILb0ELb0EiNS0_19identity_decomposerEEEEEvT0_T1_T2_T3_T4_SL_T5_.num_agpr, 0
	.set _ZN7rocprim17ROCPRIM_304000_NS6detail33device_block_merge_oddeven_kernelINS1_37wrapped_merge_sort_block_merge_configINS0_14default_configEiN2at4cuda3cub6detail10OpaqueTypeILi4EEEEEPiSC_PSA_SD_jNS1_19radix_merge_compareILb0ELb0EiNS0_19identity_decomposerEEEEEvT0_T1_T2_T3_T4_SL_T5_.numbered_sgpr, 22
	.set _ZN7rocprim17ROCPRIM_304000_NS6detail33device_block_merge_oddeven_kernelINS1_37wrapped_merge_sort_block_merge_configINS0_14default_configEiN2at4cuda3cub6detail10OpaqueTypeILi4EEEEEPiSC_PSA_SD_jNS1_19radix_merge_compareILb0ELb0EiNS0_19identity_decomposerEEEEEvT0_T1_T2_T3_T4_SL_T5_.num_named_barrier, 0
	.set _ZN7rocprim17ROCPRIM_304000_NS6detail33device_block_merge_oddeven_kernelINS1_37wrapped_merge_sort_block_merge_configINS0_14default_configEiN2at4cuda3cub6detail10OpaqueTypeILi4EEEEEPiSC_PSA_SD_jNS1_19radix_merge_compareILb0ELb0EiNS0_19identity_decomposerEEEEEvT0_T1_T2_T3_T4_SL_T5_.private_seg_size, 0
	.set _ZN7rocprim17ROCPRIM_304000_NS6detail33device_block_merge_oddeven_kernelINS1_37wrapped_merge_sort_block_merge_configINS0_14default_configEiN2at4cuda3cub6detail10OpaqueTypeILi4EEEEEPiSC_PSA_SD_jNS1_19radix_merge_compareILb0ELb0EiNS0_19identity_decomposerEEEEEvT0_T1_T2_T3_T4_SL_T5_.uses_vcc, 1
	.set _ZN7rocprim17ROCPRIM_304000_NS6detail33device_block_merge_oddeven_kernelINS1_37wrapped_merge_sort_block_merge_configINS0_14default_configEiN2at4cuda3cub6detail10OpaqueTypeILi4EEEEEPiSC_PSA_SD_jNS1_19radix_merge_compareILb0ELb0EiNS0_19identity_decomposerEEEEEvT0_T1_T2_T3_T4_SL_T5_.uses_flat_scratch, 0
	.set _ZN7rocprim17ROCPRIM_304000_NS6detail33device_block_merge_oddeven_kernelINS1_37wrapped_merge_sort_block_merge_configINS0_14default_configEiN2at4cuda3cub6detail10OpaqueTypeILi4EEEEEPiSC_PSA_SD_jNS1_19radix_merge_compareILb0ELb0EiNS0_19identity_decomposerEEEEEvT0_T1_T2_T3_T4_SL_T5_.has_dyn_sized_stack, 0
	.set _ZN7rocprim17ROCPRIM_304000_NS6detail33device_block_merge_oddeven_kernelINS1_37wrapped_merge_sort_block_merge_configINS0_14default_configEiN2at4cuda3cub6detail10OpaqueTypeILi4EEEEEPiSC_PSA_SD_jNS1_19radix_merge_compareILb0ELb0EiNS0_19identity_decomposerEEEEEvT0_T1_T2_T3_T4_SL_T5_.has_recursion, 0
	.set _ZN7rocprim17ROCPRIM_304000_NS6detail33device_block_merge_oddeven_kernelINS1_37wrapped_merge_sort_block_merge_configINS0_14default_configEiN2at4cuda3cub6detail10OpaqueTypeILi4EEEEEPiSC_PSA_SD_jNS1_19radix_merge_compareILb0ELb0EiNS0_19identity_decomposerEEEEEvT0_T1_T2_T3_T4_SL_T5_.has_indirect_call, 0
	.section	.AMDGPU.csdata,"",@progbits
; Kernel info:
; codeLenInByte = 804
; TotalNumSgprs: 26
; NumVgprs: 11
; ScratchSize: 0
; MemoryBound: 0
; FloatMode: 240
; IeeeMode: 1
; LDSByteSize: 0 bytes/workgroup (compile time only)
; SGPRBlocks: 3
; VGPRBlocks: 2
; NumSGPRsForWavesPerEU: 26
; NumVGPRsForWavesPerEU: 11
; Occupancy: 10
; WaveLimiterHint : 0
; COMPUTE_PGM_RSRC2:SCRATCH_EN: 0
; COMPUTE_PGM_RSRC2:USER_SGPR: 6
; COMPUTE_PGM_RSRC2:TRAP_HANDLER: 0
; COMPUTE_PGM_RSRC2:TGID_X_EN: 1
; COMPUTE_PGM_RSRC2:TGID_Y_EN: 0
; COMPUTE_PGM_RSRC2:TGID_Z_EN: 0
; COMPUTE_PGM_RSRC2:TIDIG_COMP_CNT: 0
	.section	.text._ZN7rocprim17ROCPRIM_304000_NS6detail45device_block_merge_mergepath_partition_kernelINS1_37wrapped_merge_sort_block_merge_configINS0_14default_configEiN2at4cuda3cub6detail10OpaqueTypeILi4EEEEEPijNS1_19radix_merge_compareILb0ELb1EiNS0_19identity_decomposerEEEEEvT0_T1_jPSH_T2_SH_,"axG",@progbits,_ZN7rocprim17ROCPRIM_304000_NS6detail45device_block_merge_mergepath_partition_kernelINS1_37wrapped_merge_sort_block_merge_configINS0_14default_configEiN2at4cuda3cub6detail10OpaqueTypeILi4EEEEEPijNS1_19radix_merge_compareILb0ELb1EiNS0_19identity_decomposerEEEEEvT0_T1_jPSH_T2_SH_,comdat
	.protected	_ZN7rocprim17ROCPRIM_304000_NS6detail45device_block_merge_mergepath_partition_kernelINS1_37wrapped_merge_sort_block_merge_configINS0_14default_configEiN2at4cuda3cub6detail10OpaqueTypeILi4EEEEEPijNS1_19radix_merge_compareILb0ELb1EiNS0_19identity_decomposerEEEEEvT0_T1_jPSH_T2_SH_ ; -- Begin function _ZN7rocprim17ROCPRIM_304000_NS6detail45device_block_merge_mergepath_partition_kernelINS1_37wrapped_merge_sort_block_merge_configINS0_14default_configEiN2at4cuda3cub6detail10OpaqueTypeILi4EEEEEPijNS1_19radix_merge_compareILb0ELb1EiNS0_19identity_decomposerEEEEEvT0_T1_jPSH_T2_SH_
	.globl	_ZN7rocprim17ROCPRIM_304000_NS6detail45device_block_merge_mergepath_partition_kernelINS1_37wrapped_merge_sort_block_merge_configINS0_14default_configEiN2at4cuda3cub6detail10OpaqueTypeILi4EEEEEPijNS1_19radix_merge_compareILb0ELb1EiNS0_19identity_decomposerEEEEEvT0_T1_jPSH_T2_SH_
	.p2align	8
	.type	_ZN7rocprim17ROCPRIM_304000_NS6detail45device_block_merge_mergepath_partition_kernelINS1_37wrapped_merge_sort_block_merge_configINS0_14default_configEiN2at4cuda3cub6detail10OpaqueTypeILi4EEEEEPijNS1_19radix_merge_compareILb0ELb1EiNS0_19identity_decomposerEEEEEvT0_T1_jPSH_T2_SH_,@function
_ZN7rocprim17ROCPRIM_304000_NS6detail45device_block_merge_mergepath_partition_kernelINS1_37wrapped_merge_sort_block_merge_configINS0_14default_configEiN2at4cuda3cub6detail10OpaqueTypeILi4EEEEEPijNS1_19radix_merge_compareILb0ELb1EiNS0_19identity_decomposerEEEEEvT0_T1_jPSH_T2_SH_: ; @_ZN7rocprim17ROCPRIM_304000_NS6detail45device_block_merge_mergepath_partition_kernelINS1_37wrapped_merge_sort_block_merge_configINS0_14default_configEiN2at4cuda3cub6detail10OpaqueTypeILi4EEEEEPijNS1_19radix_merge_compareILb0ELb1EiNS0_19identity_decomposerEEEEEvT0_T1_jPSH_T2_SH_
; %bb.0:
	s_load_dwordx2 s[2:3], s[4:5], 0x8
	v_lshl_or_b32 v0, s6, 7, v0
	s_waitcnt lgkmcnt(0)
	v_cmp_gt_u32_e32 vcc, s3, v0
	s_and_saveexec_b64 s[0:1], vcc
	s_cbranch_execz .LBB20_6
; %bb.1:
	s_load_dwordx2 s[0:1], s[4:5], 0x18
	s_waitcnt lgkmcnt(0)
	s_lshr_b32 s3, s1, 9
	s_and_b32 s3, s3, 0x7ffffe
	s_add_i32 s6, s3, -1
	s_sub_i32 s3, 0, s3
	v_and_b32_e32 v1, s3, v0
	v_lshlrev_b32_e32 v3, 10, v1
	v_min_u32_e32 v1, s2, v3
	v_add_u32_e32 v3, s1, v3
	v_min_u32_e32 v3, s2, v3
	v_add_u32_e32 v4, s1, v3
	v_and_b32_e32 v2, s6, v0
	v_min_u32_e32 v4, s2, v4
	v_lshlrev_b32_e32 v2, 10, v2
	v_sub_u32_e32 v5, v4, v1
	v_min_u32_e32 v6, v5, v2
	v_sub_u32_e32 v2, v3, v1
	v_sub_u32_e32 v4, v4, v3
	v_sub_u32_e64 v5, v6, v4 clamp
	v_min_u32_e32 v7, v6, v2
	v_cmp_lt_u32_e32 vcc, v5, v7
	s_and_saveexec_b64 s[2:3], vcc
	s_cbranch_execz .LBB20_5
; %bb.2:
	s_load_dwordx2 s[6:7], s[4:5], 0x0
	v_mov_b32_e32 v4, 0
	v_mov_b32_e32 v2, v4
	v_lshlrev_b64 v[8:9], 2, v[1:2]
	s_waitcnt lgkmcnt(0)
	v_mov_b32_e32 v11, s7
	v_add_co_u32_e32 v2, vcc, s6, v8
	v_addc_co_u32_e32 v8, vcc, v11, v9, vcc
	v_lshlrev_b64 v[9:10], 2, v[3:4]
	v_add_co_u32_e32 v9, vcc, s6, v9
	v_addc_co_u32_e32 v10, vcc, v11, v10, vcc
	s_mov_b64 s[6:7], 0
.LBB20_3:                               ; =>This Inner Loop Header: Depth=1
	v_add_u32_e32 v3, v7, v5
	v_lshrrev_b32_e32 v3, 1, v3
	v_lshlrev_b64 v[13:14], 2, v[3:4]
	v_mov_b32_e32 v12, v4
	v_xad_u32 v11, v3, -1, v6
	v_lshlrev_b64 v[11:12], 2, v[11:12]
	v_add_co_u32_e32 v13, vcc, v2, v13
	v_addc_co_u32_e32 v14, vcc, v8, v14, vcc
	v_add_co_u32_e32 v11, vcc, v9, v11
	v_addc_co_u32_e32 v12, vcc, v10, v12, vcc
	global_load_dword v15, v[13:14], off
	global_load_dword v16, v[11:12], off
	v_add_u32_e32 v11, 1, v3
	s_waitcnt vmcnt(1)
	v_and_b32_e32 v12, s0, v15
	s_waitcnt vmcnt(0)
	v_and_b32_e32 v13, s0, v16
	v_cmp_gt_i32_e32 vcc, v12, v13
	v_cndmask_b32_e32 v7, v7, v3, vcc
	v_cndmask_b32_e32 v5, v11, v5, vcc
	v_cmp_ge_u32_e32 vcc, v5, v7
	s_or_b64 s[6:7], vcc, s[6:7]
	s_andn2_b64 exec, exec, s[6:7]
	s_cbranch_execnz .LBB20_3
; %bb.4:
	s_or_b64 exec, exec, s[6:7]
.LBB20_5:
	s_or_b64 exec, exec, s[2:3]
	s_load_dwordx2 s[0:1], s[4:5], 0x10
	v_add_u32_e32 v2, v5, v1
	v_mov_b32_e32 v1, 0
	v_lshlrev_b64 v[0:1], 2, v[0:1]
	s_waitcnt lgkmcnt(0)
	v_mov_b32_e32 v3, s1
	v_add_co_u32_e32 v0, vcc, s0, v0
	v_addc_co_u32_e32 v1, vcc, v3, v1, vcc
	global_store_dword v[0:1], v2, off
.LBB20_6:
	s_endpgm
	.section	.rodata,"a",@progbits
	.p2align	6, 0x0
	.amdhsa_kernel _ZN7rocprim17ROCPRIM_304000_NS6detail45device_block_merge_mergepath_partition_kernelINS1_37wrapped_merge_sort_block_merge_configINS0_14default_configEiN2at4cuda3cub6detail10OpaqueTypeILi4EEEEEPijNS1_19radix_merge_compareILb0ELb1EiNS0_19identity_decomposerEEEEEvT0_T1_jPSH_T2_SH_
		.amdhsa_group_segment_fixed_size 0
		.amdhsa_private_segment_fixed_size 0
		.amdhsa_kernarg_size 32
		.amdhsa_user_sgpr_count 6
		.amdhsa_user_sgpr_private_segment_buffer 1
		.amdhsa_user_sgpr_dispatch_ptr 0
		.amdhsa_user_sgpr_queue_ptr 0
		.amdhsa_user_sgpr_kernarg_segment_ptr 1
		.amdhsa_user_sgpr_dispatch_id 0
		.amdhsa_user_sgpr_flat_scratch_init 0
		.amdhsa_user_sgpr_private_segment_size 0
		.amdhsa_uses_dynamic_stack 0
		.amdhsa_system_sgpr_private_segment_wavefront_offset 0
		.amdhsa_system_sgpr_workgroup_id_x 1
		.amdhsa_system_sgpr_workgroup_id_y 0
		.amdhsa_system_sgpr_workgroup_id_z 0
		.amdhsa_system_sgpr_workgroup_info 0
		.amdhsa_system_vgpr_workitem_id 0
		.amdhsa_next_free_vgpr 17
		.amdhsa_next_free_sgpr 8
		.amdhsa_reserve_vcc 1
		.amdhsa_reserve_flat_scratch 0
		.amdhsa_float_round_mode_32 0
		.amdhsa_float_round_mode_16_64 0
		.amdhsa_float_denorm_mode_32 3
		.amdhsa_float_denorm_mode_16_64 3
		.amdhsa_dx10_clamp 1
		.amdhsa_ieee_mode 1
		.amdhsa_fp16_overflow 0
		.amdhsa_exception_fp_ieee_invalid_op 0
		.amdhsa_exception_fp_denorm_src 0
		.amdhsa_exception_fp_ieee_div_zero 0
		.amdhsa_exception_fp_ieee_overflow 0
		.amdhsa_exception_fp_ieee_underflow 0
		.amdhsa_exception_fp_ieee_inexact 0
		.amdhsa_exception_int_div_zero 0
	.end_amdhsa_kernel
	.section	.text._ZN7rocprim17ROCPRIM_304000_NS6detail45device_block_merge_mergepath_partition_kernelINS1_37wrapped_merge_sort_block_merge_configINS0_14default_configEiN2at4cuda3cub6detail10OpaqueTypeILi4EEEEEPijNS1_19radix_merge_compareILb0ELb1EiNS0_19identity_decomposerEEEEEvT0_T1_jPSH_T2_SH_,"axG",@progbits,_ZN7rocprim17ROCPRIM_304000_NS6detail45device_block_merge_mergepath_partition_kernelINS1_37wrapped_merge_sort_block_merge_configINS0_14default_configEiN2at4cuda3cub6detail10OpaqueTypeILi4EEEEEPijNS1_19radix_merge_compareILb0ELb1EiNS0_19identity_decomposerEEEEEvT0_T1_jPSH_T2_SH_,comdat
.Lfunc_end20:
	.size	_ZN7rocprim17ROCPRIM_304000_NS6detail45device_block_merge_mergepath_partition_kernelINS1_37wrapped_merge_sort_block_merge_configINS0_14default_configEiN2at4cuda3cub6detail10OpaqueTypeILi4EEEEEPijNS1_19radix_merge_compareILb0ELb1EiNS0_19identity_decomposerEEEEEvT0_T1_jPSH_T2_SH_, .Lfunc_end20-_ZN7rocprim17ROCPRIM_304000_NS6detail45device_block_merge_mergepath_partition_kernelINS1_37wrapped_merge_sort_block_merge_configINS0_14default_configEiN2at4cuda3cub6detail10OpaqueTypeILi4EEEEEPijNS1_19radix_merge_compareILb0ELb1EiNS0_19identity_decomposerEEEEEvT0_T1_jPSH_T2_SH_
                                        ; -- End function
	.set _ZN7rocprim17ROCPRIM_304000_NS6detail45device_block_merge_mergepath_partition_kernelINS1_37wrapped_merge_sort_block_merge_configINS0_14default_configEiN2at4cuda3cub6detail10OpaqueTypeILi4EEEEEPijNS1_19radix_merge_compareILb0ELb1EiNS0_19identity_decomposerEEEEEvT0_T1_jPSH_T2_SH_.num_vgpr, 17
	.set _ZN7rocprim17ROCPRIM_304000_NS6detail45device_block_merge_mergepath_partition_kernelINS1_37wrapped_merge_sort_block_merge_configINS0_14default_configEiN2at4cuda3cub6detail10OpaqueTypeILi4EEEEEPijNS1_19radix_merge_compareILb0ELb1EiNS0_19identity_decomposerEEEEEvT0_T1_jPSH_T2_SH_.num_agpr, 0
	.set _ZN7rocprim17ROCPRIM_304000_NS6detail45device_block_merge_mergepath_partition_kernelINS1_37wrapped_merge_sort_block_merge_configINS0_14default_configEiN2at4cuda3cub6detail10OpaqueTypeILi4EEEEEPijNS1_19radix_merge_compareILb0ELb1EiNS0_19identity_decomposerEEEEEvT0_T1_jPSH_T2_SH_.numbered_sgpr, 8
	.set _ZN7rocprim17ROCPRIM_304000_NS6detail45device_block_merge_mergepath_partition_kernelINS1_37wrapped_merge_sort_block_merge_configINS0_14default_configEiN2at4cuda3cub6detail10OpaqueTypeILi4EEEEEPijNS1_19radix_merge_compareILb0ELb1EiNS0_19identity_decomposerEEEEEvT0_T1_jPSH_T2_SH_.num_named_barrier, 0
	.set _ZN7rocprim17ROCPRIM_304000_NS6detail45device_block_merge_mergepath_partition_kernelINS1_37wrapped_merge_sort_block_merge_configINS0_14default_configEiN2at4cuda3cub6detail10OpaqueTypeILi4EEEEEPijNS1_19radix_merge_compareILb0ELb1EiNS0_19identity_decomposerEEEEEvT0_T1_jPSH_T2_SH_.private_seg_size, 0
	.set _ZN7rocprim17ROCPRIM_304000_NS6detail45device_block_merge_mergepath_partition_kernelINS1_37wrapped_merge_sort_block_merge_configINS0_14default_configEiN2at4cuda3cub6detail10OpaqueTypeILi4EEEEEPijNS1_19radix_merge_compareILb0ELb1EiNS0_19identity_decomposerEEEEEvT0_T1_jPSH_T2_SH_.uses_vcc, 1
	.set _ZN7rocprim17ROCPRIM_304000_NS6detail45device_block_merge_mergepath_partition_kernelINS1_37wrapped_merge_sort_block_merge_configINS0_14default_configEiN2at4cuda3cub6detail10OpaqueTypeILi4EEEEEPijNS1_19radix_merge_compareILb0ELb1EiNS0_19identity_decomposerEEEEEvT0_T1_jPSH_T2_SH_.uses_flat_scratch, 0
	.set _ZN7rocprim17ROCPRIM_304000_NS6detail45device_block_merge_mergepath_partition_kernelINS1_37wrapped_merge_sort_block_merge_configINS0_14default_configEiN2at4cuda3cub6detail10OpaqueTypeILi4EEEEEPijNS1_19radix_merge_compareILb0ELb1EiNS0_19identity_decomposerEEEEEvT0_T1_jPSH_T2_SH_.has_dyn_sized_stack, 0
	.set _ZN7rocprim17ROCPRIM_304000_NS6detail45device_block_merge_mergepath_partition_kernelINS1_37wrapped_merge_sort_block_merge_configINS0_14default_configEiN2at4cuda3cub6detail10OpaqueTypeILi4EEEEEPijNS1_19radix_merge_compareILb0ELb1EiNS0_19identity_decomposerEEEEEvT0_T1_jPSH_T2_SH_.has_recursion, 0
	.set _ZN7rocprim17ROCPRIM_304000_NS6detail45device_block_merge_mergepath_partition_kernelINS1_37wrapped_merge_sort_block_merge_configINS0_14default_configEiN2at4cuda3cub6detail10OpaqueTypeILi4EEEEEPijNS1_19radix_merge_compareILb0ELb1EiNS0_19identity_decomposerEEEEEvT0_T1_jPSH_T2_SH_.has_indirect_call, 0
	.section	.AMDGPU.csdata,"",@progbits
; Kernel info:
; codeLenInByte = 376
; TotalNumSgprs: 12
; NumVgprs: 17
; ScratchSize: 0
; MemoryBound: 0
; FloatMode: 240
; IeeeMode: 1
; LDSByteSize: 0 bytes/workgroup (compile time only)
; SGPRBlocks: 1
; VGPRBlocks: 4
; NumSGPRsForWavesPerEU: 12
; NumVGPRsForWavesPerEU: 17
; Occupancy: 10
; WaveLimiterHint : 0
; COMPUTE_PGM_RSRC2:SCRATCH_EN: 0
; COMPUTE_PGM_RSRC2:USER_SGPR: 6
; COMPUTE_PGM_RSRC2:TRAP_HANDLER: 0
; COMPUTE_PGM_RSRC2:TGID_X_EN: 1
; COMPUTE_PGM_RSRC2:TGID_Y_EN: 0
; COMPUTE_PGM_RSRC2:TGID_Z_EN: 0
; COMPUTE_PGM_RSRC2:TIDIG_COMP_CNT: 0
	.section	.text._ZN7rocprim17ROCPRIM_304000_NS6detail35device_block_merge_mergepath_kernelINS1_37wrapped_merge_sort_block_merge_configINS0_14default_configEiN2at4cuda3cub6detail10OpaqueTypeILi4EEEEEPiSC_PSA_SD_jNS1_19radix_merge_compareILb0ELb1EiNS0_19identity_decomposerEEEEEvT0_T1_T2_T3_T4_SL_jT5_PKSL_NS1_7vsmem_tE,"axG",@progbits,_ZN7rocprim17ROCPRIM_304000_NS6detail35device_block_merge_mergepath_kernelINS1_37wrapped_merge_sort_block_merge_configINS0_14default_configEiN2at4cuda3cub6detail10OpaqueTypeILi4EEEEEPiSC_PSA_SD_jNS1_19radix_merge_compareILb0ELb1EiNS0_19identity_decomposerEEEEEvT0_T1_T2_T3_T4_SL_jT5_PKSL_NS1_7vsmem_tE,comdat
	.protected	_ZN7rocprim17ROCPRIM_304000_NS6detail35device_block_merge_mergepath_kernelINS1_37wrapped_merge_sort_block_merge_configINS0_14default_configEiN2at4cuda3cub6detail10OpaqueTypeILi4EEEEEPiSC_PSA_SD_jNS1_19radix_merge_compareILb0ELb1EiNS0_19identity_decomposerEEEEEvT0_T1_T2_T3_T4_SL_jT5_PKSL_NS1_7vsmem_tE ; -- Begin function _ZN7rocprim17ROCPRIM_304000_NS6detail35device_block_merge_mergepath_kernelINS1_37wrapped_merge_sort_block_merge_configINS0_14default_configEiN2at4cuda3cub6detail10OpaqueTypeILi4EEEEEPiSC_PSA_SD_jNS1_19radix_merge_compareILb0ELb1EiNS0_19identity_decomposerEEEEEvT0_T1_T2_T3_T4_SL_jT5_PKSL_NS1_7vsmem_tE
	.globl	_ZN7rocprim17ROCPRIM_304000_NS6detail35device_block_merge_mergepath_kernelINS1_37wrapped_merge_sort_block_merge_configINS0_14default_configEiN2at4cuda3cub6detail10OpaqueTypeILi4EEEEEPiSC_PSA_SD_jNS1_19radix_merge_compareILb0ELb1EiNS0_19identity_decomposerEEEEEvT0_T1_T2_T3_T4_SL_jT5_PKSL_NS1_7vsmem_tE
	.p2align	8
	.type	_ZN7rocprim17ROCPRIM_304000_NS6detail35device_block_merge_mergepath_kernelINS1_37wrapped_merge_sort_block_merge_configINS0_14default_configEiN2at4cuda3cub6detail10OpaqueTypeILi4EEEEEPiSC_PSA_SD_jNS1_19radix_merge_compareILb0ELb1EiNS0_19identity_decomposerEEEEEvT0_T1_T2_T3_T4_SL_jT5_PKSL_NS1_7vsmem_tE,@function
_ZN7rocprim17ROCPRIM_304000_NS6detail35device_block_merge_mergepath_kernelINS1_37wrapped_merge_sort_block_merge_configINS0_14default_configEiN2at4cuda3cub6detail10OpaqueTypeILi4EEEEEPiSC_PSA_SD_jNS1_19radix_merge_compareILb0ELb1EiNS0_19identity_decomposerEEEEEvT0_T1_T2_T3_T4_SL_jT5_PKSL_NS1_7vsmem_tE: ; @_ZN7rocprim17ROCPRIM_304000_NS6detail35device_block_merge_mergepath_kernelINS1_37wrapped_merge_sort_block_merge_configINS0_14default_configEiN2at4cuda3cub6detail10OpaqueTypeILi4EEEEEPiSC_PSA_SD_jNS1_19radix_merge_compareILb0ELb1EiNS0_19identity_decomposerEEEEEvT0_T1_T2_T3_T4_SL_jT5_PKSL_NS1_7vsmem_tE
; %bb.0:
	s_load_dwordx2 s[10:11], s[4:5], 0x40
	s_load_dwordx4 s[20:23], s[4:5], 0x20
	s_add_u32 s2, s4, 64
	s_addc_u32 s3, s5, 0
	s_waitcnt lgkmcnt(0)
	s_mul_i32 s0, s11, s8
	s_add_i32 s0, s0, s7
	s_mul_i32 s0, s0, s10
	s_add_i32 s0, s0, s6
	s_cmp_ge_u32 s0, s22
	s_cbranch_scc1 .LBB21_103
; %bb.1:
	s_load_dwordx8 s[12:19], s[4:5], 0x0
	s_load_dwordx2 s[8:9], s[4:5], 0x30
	s_lshr_b32 s11, s20, 10
	s_cmp_lg_u32 s0, s11
	s_mov_b32 s1, 0
	s_cselect_b64 s[24:25], -1, 0
	s_lshl_b64 s[4:5], s[0:1], 2
	s_waitcnt lgkmcnt(0)
	s_add_u32 s4, s8, s4
	s_addc_u32 s5, s9, s5
	s_load_dwordx2 s[26:27], s[4:5], 0x0
	s_lshr_b32 s4, s21, 9
	s_and_b32 s4, s4, 0x7ffffe
	s_sub_i32 s4, 0, s4
	s_and_b32 s5, s0, s4
	s_lshl_b32 s7, s5, 10
	s_lshl_b32 s22, s0, 10
	;; [unrolled: 1-line block ×3, first 2 shown]
	s_sub_i32 s8, s22, s7
	s_add_i32 s5, s5, s21
	s_add_i32 s8, s5, s8
	s_waitcnt lgkmcnt(0)
	s_sub_i32 s9, s8, s26
	s_sub_i32 s8, s8, s27
	;; [unrolled: 1-line block ×3, first 2 shown]
	s_min_u32 s28, s20, s9
	s_addk_i32 s8, 0x400
	s_or_b32 s4, s0, s4
	s_min_u32 s7, s20, s5
	s_add_i32 s5, s5, s21
	s_cmp_eq_u32 s4, -1
	s_cselect_b32 s4, s5, s8
	s_cselect_b32 s5, s7, s27
	s_min_u32 s4, s4, s20
	s_mov_b32 s27, s1
	s_sub_i32 s33, s5, s26
	s_sub_i32 s38, s4, s28
	s_lshl_b64 s[30:31], s[26:27], 2
	s_add_u32 s5, s12, s30
	s_mov_b32 s29, s1
	s_addc_u32 s7, s13, s31
	s_lshl_b64 s[34:35], s[28:29], 2
	s_add_u32 s4, s12, s34
	v_mov_b32_e32 v10, 0
	global_load_dword v1, v10, s[2:3] offset:14
	s_addc_u32 s8, s13, s35
	s_cmp_lt_u32 s6, s10
	s_cselect_b32 s1, 12, 18
	s_add_u32 s2, s2, s1
	s_addc_u32 s3, s3, 0
	global_load_ushort v2, v10, s[2:3]
	s_cmp_eq_u32 s0, s11
	v_cmp_gt_u32_e32 vcc, s33, v0
	v_lshlrev_b32_e32 v13, 2, v0
	s_waitcnt vmcnt(1)
	v_lshrrev_b32_e32 v3, 16, v1
	v_and_b32_e32 v1, 0xffff, v1
	v_mul_lo_u32 v1, v1, v3
	s_waitcnt vmcnt(0)
	v_mul_lo_u32 v11, v1, v2
	v_add_u32_e32 v9, v11, v0
	s_cbranch_scc1 .LBB21_3
; %bb.2:
	v_mov_b32_e32 v1, s7
	v_add_co_u32_e64 v3, s[0:1], s5, v13
	v_subrev_u32_e32 v2, s33, v0
	v_addc_co_u32_e64 v1, s[0:1], 0, v1, s[0:1]
	v_lshlrev_b32_e32 v2, 2, v2
	v_mov_b32_e32 v4, s8
	v_add_co_u32_e64 v5, s[0:1], s4, v2
	v_addc_co_u32_e64 v2, s[0:1], 0, v4, s[0:1]
	v_cndmask_b32_e32 v2, v2, v1, vcc
	v_cndmask_b32_e32 v1, v5, v3, vcc
	global_load_dword v1, v[1:2], off
	v_lshlrev_b64 v[2:3], 2, v[9:10]
	v_mov_b32_e32 v4, s7
	v_add_co_u32_e32 v5, vcc, s5, v2
	v_addc_co_u32_e32 v4, vcc, v4, v3, vcc
	v_subrev_co_u32_e32 v2, vcc, s33, v9
	v_mov_b32_e32 v3, v10
	v_lshlrev_b64 v[2:3], 2, v[2:3]
	v_mov_b32_e32 v6, s8
	v_add_co_u32_e64 v2, s[0:1], s4, v2
	v_addc_co_u32_e64 v3, s[0:1], v6, v3, s[0:1]
	v_cndmask_b32_e32 v3, v3, v4, vcc
	v_cndmask_b32_e32 v2, v2, v5, vcc
	v_add_u32_e32 v4, v9, v11
	v_mov_b32_e32 v5, v10
	v_lshlrev_b64 v[5:6], 2, v[4:5]
	global_load_dword v2, v[2:3], off
	v_mov_b32_e32 v3, s7
	v_add_co_u32_e32 v7, vcc, s5, v5
	v_addc_co_u32_e32 v3, vcc, v3, v6, vcc
	v_subrev_co_u32_e32 v5, vcc, s33, v4
	v_mov_b32_e32 v6, v10
	v_lshlrev_b64 v[5:6], 2, v[5:6]
	v_mov_b32_e32 v8, s8
	v_add_co_u32_e64 v5, s[0:1], s4, v5
	v_addc_co_u32_e64 v6, s[0:1], v8, v6, s[0:1]
	v_cndmask_b32_e32 v6, v6, v3, vcc
	v_cndmask_b32_e32 v5, v5, v7, vcc
	global_load_dword v3, v[5:6], off
	v_add_u32_e32 v5, v4, v11
	v_mov_b32_e32 v6, v10
	v_lshlrev_b64 v[6:7], 2, v[5:6]
	v_mov_b32_e32 v4, s7
	v_add_co_u32_e32 v8, vcc, s5, v6
	v_addc_co_u32_e32 v4, vcc, v4, v7, vcc
	v_subrev_co_u32_e32 v6, vcc, s33, v5
	v_mov_b32_e32 v7, v10
	v_lshlrev_b64 v[6:7], 2, v[6:7]
	v_mov_b32_e32 v12, s8
	v_add_co_u32_e64 v6, s[0:1], s4, v6
	v_addc_co_u32_e64 v7, s[0:1], v12, v7, s[0:1]
	v_cndmask_b32_e32 v7, v7, v4, vcc
	v_cndmask_b32_e32 v6, v6, v8, vcc
	global_load_dword v4, v[6:7], off
	v_add_u32_e32 v6, v5, v11
	v_mov_b32_e32 v7, v10
	v_lshlrev_b64 v[7:8], 2, v[6:7]
	;; [unrolled: 15-line block ×4, first 2 shown]
	v_mov_b32_e32 v12, s7
	v_add_co_u32_e32 v15, vcc, s5, v7
	v_addc_co_u32_e32 v12, vcc, v12, v8, vcc
	v_subrev_co_u32_e32 v7, vcc, s33, v14
	v_mov_b32_e32 v8, v10
	v_lshlrev_b64 v[7:8], 2, v[7:8]
	v_mov_b32_e32 v16, s8
	v_add_co_u32_e64 v7, s[0:1], s4, v7
	v_cndmask_b32_e32 v7, v7, v15, vcc
	v_add_u32_e32 v14, v14, v11
	v_mov_b32_e32 v15, v10
	v_addc_co_u32_e64 v8, s[0:1], v16, v8, s[0:1]
	v_lshlrev_b64 v[15:16], 2, v[14:15]
	v_cndmask_b32_e32 v8, v8, v12, vcc
	global_load_dword v7, v[7:8], off
	v_mov_b32_e32 v8, s7
	v_add_co_u32_e32 v12, vcc, s5, v15
	v_addc_co_u32_e32 v8, vcc, v8, v16, vcc
	v_subrev_co_u32_e32 v14, vcc, s33, v14
	v_mov_b32_e32 v15, v10
	v_lshlrev_b64 v[14:15], 2, v[14:15]
	v_mov_b32_e32 v10, s8
	v_add_co_u32_e64 v14, s[0:1], s4, v14
	v_addc_co_u32_e64 v10, s[0:1], v10, v15, s[0:1]
	v_cndmask_b32_e32 v15, v10, v8, vcc
	v_cndmask_b32_e32 v14, v14, v12, vcc
	global_load_dword v8, v[14:15], off
	s_add_i32 s21, s38, s33
	s_cbranch_execz .LBB21_4
	s_branch .LBB21_21
.LBB21_3:
                                        ; implicit-def: $vgpr1_vgpr2_vgpr3_vgpr4_vgpr5_vgpr6_vgpr7_vgpr8
                                        ; implicit-def: $sgpr21
.LBB21_4:
	s_add_i32 s21, s38, s33
	s_waitcnt vmcnt(7)
	v_mov_b32_e32 v1, 0
	v_cmp_gt_u32_e32 vcc, s21, v0
	s_waitcnt vmcnt(6)
	v_mov_b32_e32 v2, v1
	s_waitcnt vmcnt(5)
	v_mov_b32_e32 v3, v1
	;; [unrolled: 2-line block ×7, first 2 shown]
	s_and_saveexec_b64 s[0:1], vcc
	s_cbranch_execz .LBB21_6
; %bb.5:
	v_mov_b32_e32 v2, s7
	v_add_co_u32_e32 v4, vcc, s5, v13
	v_subrev_u32_e32 v3, s33, v0
	v_addc_co_u32_e32 v2, vcc, 0, v2, vcc
	v_lshlrev_b32_e32 v3, 2, v3
	v_mov_b32_e32 v5, s8
	v_add_co_u32_e32 v6, vcc, s4, v3
	v_addc_co_u32_e32 v3, vcc, 0, v5, vcc
	v_cmp_gt_u32_e32 vcc, s33, v0
	v_cndmask_b32_e32 v3, v3, v2, vcc
	v_cndmask_b32_e32 v2, v6, v4, vcc
	global_load_dword v14, v[2:3], off
	v_mov_b32_e32 v15, v1
	v_mov_b32_e32 v16, v1
	;; [unrolled: 1-line block ×7, first 2 shown]
	s_waitcnt vmcnt(0)
	v_mov_b32_e32 v1, v14
	v_mov_b32_e32 v2, v15
	v_mov_b32_e32 v3, v16
	v_mov_b32_e32 v4, v17
	v_mov_b32_e32 v5, v18
	v_mov_b32_e32 v6, v19
	v_mov_b32_e32 v7, v20
	v_mov_b32_e32 v8, v21
.LBB21_6:
	s_or_b64 exec, exec, s[0:1]
	v_cmp_gt_u32_e32 vcc, s21, v9
	s_and_saveexec_b64 s[2:3], vcc
	s_cbranch_execz .LBB21_8
; %bb.7:
	v_mov_b32_e32 v10, 0
	v_lshlrev_b64 v[14:15], 2, v[9:10]
	v_mov_b32_e32 v2, s7
	v_add_co_u32_e32 v12, vcc, s5, v14
	v_addc_co_u32_e32 v2, vcc, v2, v15, vcc
	v_subrev_co_u32_e32 v14, vcc, s33, v9
	v_mov_b32_e32 v15, v10
	v_lshlrev_b64 v[14:15], 2, v[14:15]
	v_mov_b32_e32 v10, s8
	v_add_co_u32_e64 v14, s[0:1], s4, v14
	v_addc_co_u32_e64 v10, s[0:1], v10, v15, s[0:1]
	v_cndmask_b32_e32 v15, v10, v2, vcc
	v_cndmask_b32_e32 v14, v14, v12, vcc
	global_load_dword v2, v[14:15], off
.LBB21_8:
	s_or_b64 exec, exec, s[2:3]
	v_add_u32_e32 v9, v9, v11
	v_cmp_gt_u32_e32 vcc, s21, v9
	s_and_saveexec_b64 s[2:3], vcc
	s_cbranch_execz .LBB21_10
; %bb.9:
	v_mov_b32_e32 v10, 0
	v_lshlrev_b64 v[14:15], 2, v[9:10]
	v_mov_b32_e32 v3, s7
	v_add_co_u32_e32 v12, vcc, s5, v14
	v_addc_co_u32_e32 v3, vcc, v3, v15, vcc
	v_subrev_co_u32_e32 v14, vcc, s33, v9
	v_mov_b32_e32 v15, v10
	v_lshlrev_b64 v[14:15], 2, v[14:15]
	v_mov_b32_e32 v10, s8
	v_add_co_u32_e64 v14, s[0:1], s4, v14
	v_addc_co_u32_e64 v10, s[0:1], v10, v15, s[0:1]
	v_cndmask_b32_e32 v15, v10, v3, vcc
	v_cndmask_b32_e32 v14, v14, v12, vcc
	global_load_dword v3, v[14:15], off
.LBB21_10:
	s_or_b64 exec, exec, s[2:3]
	v_add_u32_e32 v9, v9, v11
	;; [unrolled: 21-line block ×6, first 2 shown]
	v_cmp_gt_u32_e32 vcc, s21, v9
	s_and_saveexec_b64 s[2:3], vcc
	s_cbranch_execz .LBB21_20
; %bb.19:
	v_mov_b32_e32 v10, 0
	v_lshlrev_b64 v[11:12], 2, v[9:10]
	v_mov_b32_e32 v8, s7
	v_add_co_u32_e32 v11, vcc, s5, v11
	v_addc_co_u32_e32 v12, vcc, v8, v12, vcc
	v_subrev_co_u32_e32 v9, vcc, s33, v9
	v_lshlrev_b64 v[8:9], 2, v[9:10]
	v_mov_b32_e32 v10, s8
	v_add_co_u32_e64 v8, s[0:1], s4, v8
	v_addc_co_u32_e64 v9, s[0:1], v10, v9, s[0:1]
	v_cndmask_b32_e32 v9, v9, v12, vcc
	v_cndmask_b32_e32 v8, v8, v11, vcc
	global_load_dword v8, v[8:9], off
.LBB21_20:
	s_or_b64 exec, exec, s[2:3]
.LBB21_21:
	v_lshlrev_b32_e32 v14, 3, v0
	v_min_u32_e32 v10, s21, v14
	v_sub_u32_e64 v9, v10, s38 clamp
	v_min_u32_e32 v11, s33, v10
	v_cmp_lt_u32_e32 vcc, v9, v11
	s_waitcnt vmcnt(0)
	ds_write2st64_b32 v13, v1, v2 offset1:2
	ds_write2st64_b32 v13, v3, v4 offset0:4 offset1:6
	ds_write2st64_b32 v13, v5, v6 offset0:8 offset1:10
	;; [unrolled: 1-line block ×3, first 2 shown]
	s_waitcnt lgkmcnt(0)
	s_barrier
	s_and_saveexec_b64 s[0:1], vcc
	s_cbranch_execz .LBB21_25
; %bb.22:
	v_lshlrev_b32_e32 v12, 2, v10
	v_lshl_add_u32 v12, s33, 2, v12
	s_mov_b64 s[2:3], 0
.LBB21_23:                              ; =>This Inner Loop Header: Depth=1
	v_add_u32_e32 v15, v11, v9
	v_lshrrev_b32_e32 v15, 1, v15
	v_not_b32_e32 v16, v15
	v_lshlrev_b32_e32 v17, 2, v15
	v_lshl_add_u32 v16, v16, 2, v12
	ds_read_b32 v17, v17
	ds_read_b32 v16, v16
	v_add_u32_e32 v18, 1, v15
	s_waitcnt lgkmcnt(1)
	v_and_b32_e32 v17, s23, v17
	s_waitcnt lgkmcnt(0)
	v_and_b32_e32 v16, s23, v16
	v_cmp_gt_i32_e32 vcc, v17, v16
	v_cndmask_b32_e32 v11, v11, v15, vcc
	v_cndmask_b32_e32 v9, v18, v9, vcc
	v_cmp_ge_u32_e32 vcc, v9, v11
	s_or_b64 s[2:3], vcc, s[2:3]
	s_andn2_b64 exec, exec, s[2:3]
	s_cbranch_execnz .LBB21_23
; %bb.24:
	s_or_b64 exec, exec, s[2:3]
.LBB21_25:
	s_or_b64 exec, exec, s[0:1]
	v_sub_u32_e32 v10, v10, v9
	v_add_u32_e32 v10, s33, v10
	v_cmp_ge_u32_e32 vcc, s33, v9
	v_cmp_ge_u32_e64 s[0:1], s21, v10
	s_or_b64 s[0:1], vcc, s[0:1]
	v_mov_b32_e32 v15, 0
	v_mov_b32_e32 v16, 0
	;; [unrolled: 1-line block ×8, first 2 shown]
	s_and_saveexec_b64 s[36:37], s[0:1]
	s_cbranch_execz .LBB21_31
; %bb.26:
	v_cmp_gt_u32_e32 vcc, s33, v9
                                        ; implicit-def: $vgpr1
	s_and_saveexec_b64 s[0:1], vcc
; %bb.27:
	v_lshlrev_b32_e32 v1, 2, v9
	ds_read_b32 v1, v1
; %bb.28:
	s_or_b64 exec, exec, s[0:1]
	v_cmp_le_u32_e64 s[0:1], s21, v10
	v_cmp_gt_u32_e64 s[2:3], s21, v10
                                        ; implicit-def: $vgpr2
	s_and_saveexec_b64 s[4:5], s[2:3]
; %bb.29:
	v_lshlrev_b32_e32 v2, 2, v10
	ds_read_b32 v2, v2
; %bb.30:
	s_or_b64 exec, exec, s[4:5]
	s_waitcnt lgkmcnt(0)
	v_and_b32_e32 v3, s23, v2
	v_and_b32_e32 v4, s23, v1
	v_cmp_le_i32_e64 s[2:3], v4, v3
	s_and_b64 s[2:3], vcc, s[2:3]
	s_or_b64 vcc, s[0:1], s[2:3]
	v_mov_b32_e32 v4, s21
	v_mov_b32_e32 v5, s33
	v_cndmask_b32_e32 v22, v10, v9, vcc
	v_cndmask_b32_e32 v3, v4, v5, vcc
	v_add_u32_e32 v6, 1, v22
	v_add_u32_e32 v3, -1, v3
	v_min_u32_e32 v3, v6, v3
	v_lshlrev_b32_e32 v3, 2, v3
	ds_read_b32 v3, v3
	v_cndmask_b32_e32 v8, v6, v10, vcc
	v_cndmask_b32_e32 v6, v9, v6, vcc
	v_cmp_gt_u32_e64 s[2:3], s33, v6
	v_cmp_le_u32_e64 s[0:1], s21, v8
	s_waitcnt lgkmcnt(0)
	v_cndmask_b32_e32 v7, v3, v2, vcc
	v_cndmask_b32_e32 v3, v1, v3, vcc
	v_and_b32_e32 v9, s23, v7
	v_and_b32_e32 v10, s23, v3
	v_cmp_le_i32_e64 s[4:5], v10, v9
	s_and_b64 s[2:3], s[2:3], s[4:5]
	s_or_b64 s[0:1], s[0:1], s[2:3]
	v_cndmask_b32_e64 v21, v8, v6, s[0:1]
	v_cndmask_b32_e64 v9, v4, v5, s[0:1]
	v_add_u32_e32 v10, 1, v21
	v_add_u32_e32 v9, -1, v9
	v_min_u32_e32 v9, v10, v9
	v_lshlrev_b32_e32 v9, 2, v9
	ds_read_b32 v9, v9
	v_cndmask_b32_e64 v8, v10, v8, s[0:1]
	v_cndmask_b32_e64 v6, v6, v10, s[0:1]
	v_cmp_gt_u32_e64 s[4:5], s33, v6
	v_cmp_le_u32_e64 s[2:3], s21, v8
	s_waitcnt lgkmcnt(0)
	v_cndmask_b32_e64 v11, v9, v7, s[0:1]
	v_cndmask_b32_e64 v9, v3, v9, s[0:1]
	v_and_b32_e32 v10, s23, v11
	v_and_b32_e32 v12, s23, v9
	v_cmp_le_i32_e64 s[6:7], v12, v10
	s_and_b64 s[4:5], s[4:5], s[6:7]
	s_or_b64 s[2:3], s[2:3], s[4:5]
	v_cndmask_b32_e64 v20, v8, v6, s[2:3]
	v_cndmask_b32_e64 v10, v4, v5, s[2:3]
	v_add_u32_e32 v12, 1, v20
	v_add_u32_e32 v10, -1, v10
	v_min_u32_e32 v10, v12, v10
	v_lshlrev_b32_e32 v10, 2, v10
	ds_read_b32 v10, v10
	v_cndmask_b32_e64 v8, v12, v8, s[2:3]
	v_cndmask_b32_e64 v6, v6, v12, s[2:3]
	v_cmp_gt_u32_e64 s[6:7], s33, v6
	v_cmp_le_u32_e64 s[4:5], s21, v8
	s_waitcnt lgkmcnt(0)
	v_cndmask_b32_e64 v15, v10, v11, s[2:3]
	v_cndmask_b32_e64 v10, v9, v10, s[2:3]
	v_and_b32_e32 v12, s23, v15
	v_and_b32_e32 v16, s23, v10
	v_cmp_le_i32_e64 s[8:9], v16, v12
	s_and_b64 s[6:7], s[6:7], s[8:9]
	s_or_b64 s[4:5], s[4:5], s[6:7]
	v_cndmask_b32_e64 v19, v8, v6, s[4:5]
	v_cndmask_b32_e64 v12, v4, v5, s[4:5]
	v_add_u32_e32 v16, 1, v19
	v_add_u32_e32 v12, -1, v12
	v_min_u32_e32 v12, v16, v12
	v_lshlrev_b32_e32 v12, 2, v12
	ds_read_b32 v12, v12
	v_cndmask_b32_e64 v8, v16, v8, s[4:5]
	v_cndmask_b32_e64 v6, v6, v16, s[4:5]
	v_cmp_gt_u32_e64 s[8:9], s33, v6
	v_cmp_le_u32_e64 s[6:7], s21, v8
	s_waitcnt lgkmcnt(0)
	v_cndmask_b32_e64 v23, v12, v15, s[4:5]
	v_cndmask_b32_e64 v12, v10, v12, s[4:5]
	v_and_b32_e32 v16, s23, v23
	v_and_b32_e32 v17, s23, v12
	v_cmp_le_i32_e64 s[10:11], v17, v16
	s_and_b64 s[8:9], s[8:9], s[10:11]
	s_or_b64 s[6:7], s[6:7], s[8:9]
	v_cndmask_b32_e64 v18, v8, v6, s[6:7]
	v_cndmask_b32_e64 v16, v4, v5, s[6:7]
	v_add_u32_e32 v17, 1, v18
	v_add_u32_e32 v16, -1, v16
	v_min_u32_e32 v16, v17, v16
	v_lshlrev_b32_e32 v16, 2, v16
	ds_read_b32 v16, v16
	v_cndmask_b32_e64 v8, v17, v8, s[6:7]
	v_cndmask_b32_e64 v6, v6, v17, s[6:7]
	v_cmp_gt_u32_e64 s[10:11], s33, v6
	v_cmp_le_u32_e64 s[8:9], s21, v8
	s_waitcnt lgkmcnt(0)
	v_cndmask_b32_e64 v24, v16, v23, s[6:7]
	v_cndmask_b32_e64 v25, v12, v16, s[6:7]
	v_and_b32_e32 v16, s23, v24
	v_and_b32_e32 v17, s23, v25
	v_cmp_le_i32_e64 s[12:13], v17, v16
	s_and_b64 s[10:11], s[10:11], s[12:13]
	s_or_b64 s[8:9], s[8:9], s[10:11]
	v_cndmask_b32_e64 v17, v8, v6, s[8:9]
	v_cndmask_b32_e64 v16, v4, v5, s[8:9]
	v_add_u32_e32 v26, 1, v17
	v_add_u32_e32 v16, -1, v16
	v_min_u32_e32 v16, v26, v16
	v_lshlrev_b32_e32 v16, 2, v16
	ds_read_b32 v16, v16
	v_cndmask_b32_e32 v1, v2, v1, vcc
	v_cndmask_b32_e64 v2, v7, v3, s[0:1]
	v_cndmask_b32_e64 v3, v11, v9, s[2:3]
	;; [unrolled: 1-line block ×3, first 2 shown]
	s_waitcnt lgkmcnt(0)
	v_cndmask_b32_e64 v9, v16, v24, s[8:9]
	v_cndmask_b32_e64 v11, v25, v16, s[8:9]
	;; [unrolled: 1-line block ×3, first 2 shown]
	v_and_b32_e32 v6, s23, v9
	v_and_b32_e32 v7, s23, v11
	v_cmp_gt_u32_e64 s[0:1], s33, v26
	v_cmp_le_i32_e64 s[2:3], v7, v6
	v_cmp_le_u32_e32 vcc, s21, v8
	s_and_b64 s[0:1], s[0:1], s[2:3]
	s_or_b64 vcc, vcc, s[0:1]
	v_cndmask_b32_e32 v16, v8, v26, vcc
	v_cndmask_b32_e32 v4, v4, v5, vcc
	v_add_u32_e32 v27, 1, v16
	v_add_u32_e32 v4, -1, v4
	v_min_u32_e32 v4, v27, v4
	v_lshlrev_b32_e32 v4, 2, v4
	ds_read_b32 v28, v4
	v_cndmask_b32_e64 v4, v15, v10, s[4:5]
	v_cndmask_b32_e32 v7, v9, v11, vcc
	v_cndmask_b32_e64 v5, v23, v12, s[6:7]
	v_cndmask_b32_e32 v8, v27, v8, vcc
	s_waitcnt lgkmcnt(0)
	v_cndmask_b32_e32 v9, v28, v9, vcc
	v_cndmask_b32_e32 v10, v11, v28, vcc
	;; [unrolled: 1-line block ×3, first 2 shown]
	v_and_b32_e32 v12, s23, v9
	v_and_b32_e32 v15, s23, v10
	v_cmp_gt_u32_e64 s[0:1], s33, v11
	v_cmp_le_i32_e64 s[2:3], v15, v12
	v_cmp_le_u32_e32 vcc, s21, v8
	s_and_b64 s[0:1], s[0:1], s[2:3]
	s_or_b64 vcc, vcc, s[0:1]
	v_cndmask_b32_e64 v6, v24, v25, s[8:9]
	v_cndmask_b32_e32 v15, v8, v11, vcc
	v_cndmask_b32_e32 v8, v9, v10, vcc
.LBB21_31:
	s_or_b64 exec, exec, s[36:37]
	s_add_u32 s8, s16, s30
	s_addc_u32 s9, s17, s31
	s_add_u32 s6, s16, s34
	v_cndmask_b32_e64 v9, 0, 1, s[24:25]
	s_addc_u32 s7, s17, s35
	v_cmp_gt_u32_e64 s[4:5], s33, v0
	v_cmp_ne_u32_e64 s[0:1], 1, v9
	s_andn2_b64 vcc, exec, s[24:25]
	v_cmp_le_u32_e64 s[2:3], s33, v0
	s_barrier
	s_cbranch_vccnz .LBB21_33
; %bb.32:
	v_subrev_u32_e32 v9, s33, v0
	v_lshlrev_b32_e32 v9, 2, v9
	v_mov_b32_e32 v10, s7
	v_add_co_u32_e32 v9, vcc, s6, v9
	v_addc_co_u32_e32 v10, vcc, 0, v10, vcc
	v_mov_b32_e32 v11, s9
	v_add_co_u32_e32 v12, vcc, s8, v13
	v_addc_co_u32_e32 v11, vcc, 0, v11, vcc
	v_cndmask_b32_e64 v10, v10, v11, s[4:5]
	v_cndmask_b32_e64 v9, v9, v12, s[4:5]
	global_load_dword v11, v[9:10], off
	v_or_b32_e32 v9, 0x80, v0
	v_subrev_u32_e32 v10, s33, v9
	v_min_u32_e32 v10, v9, v10
	v_cmp_gt_u32_e32 vcc, s33, v9
	v_mov_b32_e32 v25, s6
	v_mov_b32_e32 v26, s8
	;; [unrolled: 1-line block ×4, first 2 shown]
	v_cndmask_b32_e32 v9, v25, v26, vcc
	v_lshlrev_b32_e32 v10, 2, v10
	v_cndmask_b32_e32 v23, v12, v24, vcc
	v_add_co_u32_e32 v9, vcc, v9, v10
	v_addc_co_u32_e32 v10, vcc, 0, v23, vcc
	global_load_dword v23, v[9:10], off
	v_or_b32_e32 v9, 0x100, v0
	v_subrev_u32_e32 v10, s33, v9
	v_min_u32_e32 v10, v9, v10
	v_cmp_gt_u32_e32 vcc, s33, v9
	v_cndmask_b32_e32 v9, v25, v26, vcc
	v_lshlrev_b32_e32 v10, 2, v10
	v_cndmask_b32_e32 v27, v12, v24, vcc
	v_add_co_u32_e32 v9, vcc, v9, v10
	v_addc_co_u32_e32 v10, vcc, 0, v27, vcc
	global_load_dword v27, v[9:10], off
	v_or_b32_e32 v9, 0x180, v0
	v_subrev_u32_e32 v10, s33, v9
	v_min_u32_e32 v10, v9, v10
	v_cmp_gt_u32_e32 vcc, s33, v9
	;; [unrolled: 10-line block ×5, first 2 shown]
	v_cndmask_b32_e32 v9, v25, v26, vcc
	v_lshlrev_b32_e32 v10, 2, v10
	v_cndmask_b32_e32 v31, v12, v24, vcc
	v_add_co_u32_e32 v9, vcc, v9, v10
	v_addc_co_u32_e32 v10, vcc, 0, v31, vcc
	global_load_dword v9, v[9:10], off
	s_mov_b64 s[4:5], -1
	s_waitcnt vmcnt(5)
	ds_write2st64_b32 v13, v11, v23 offset1:2
	s_waitcnt vmcnt(3)
	ds_write2st64_b32 v13, v27, v28 offset0:4 offset1:6
	s_waitcnt vmcnt(1)
	ds_write2st64_b32 v13, v29, v30 offset0:8 offset1:10
	s_waitcnt vmcnt(0)
	ds_write_b32 v13, v9 offset:3072
	v_or_b32_e32 v23, 0x380, v0
	v_subrev_u32_e32 v9, s33, v23
	v_cmp_gt_u32_e32 vcc, s33, v23
	v_min_u32_e32 v11, v23, v9
	v_cndmask_b32_e32 v10, v12, v24, vcc
	v_cndmask_b32_e32 v9, v25, v26, vcc
	s_cbranch_execz .LBB21_34
	s_branch .LBB21_65
.LBB21_33:
	s_mov_b64 s[4:5], 0
                                        ; implicit-def: $vgpr23
                                        ; implicit-def: $vgpr9_vgpr10
                                        ; implicit-def: $vgpr11
.LBB21_34:
	s_mov_b64 s[4:5], 0
                                        ; implicit-def: $vgpr9_vgpr10
	s_and_saveexec_b64 s[10:11], s[2:3]
	s_xor_b64 s[2:3], exec, s[10:11]
	s_cbranch_execnz .LBB21_104
; %bb.35:
	s_andn2_saveexec_b64 s[2:3], s[2:3]
	s_cbranch_execnz .LBB21_107
.LBB21_36:
	s_or_b64 exec, exec, s[2:3]
	s_and_saveexec_b64 s[2:3], s[4:5]
	s_cbranch_execz .LBB21_38
.LBB21_37:
	global_load_dword v9, v[9:10], off
	s_waitcnt vmcnt(0)
	ds_write_b32 v13, v9
.LBB21_38:
	s_or_b64 exec, exec, s[2:3]
	v_or_b32_e32 v11, 0x80, v0
	v_mov_b32_e32 v9, s26
	v_cmp_le_u32_e32 vcc, s33, v11
	s_mov_b64 s[2:3], -1
	v_mov_b32_e32 v10, s27
	s_and_saveexec_b64 s[4:5], vcc
; %bb.39:
	v_subrev_u32_e32 v11, s33, v11
	v_cmp_gt_u32_e32 vcc, s38, v11
	v_mov_b32_e32 v9, s28
	v_mov_b32_e32 v10, s29
	s_orn2_b64 s[2:3], vcc, exec
; %bb.40:
	s_or_b64 exec, exec, s[4:5]
	s_and_saveexec_b64 s[4:5], s[2:3]
	s_cbranch_execz .LBB21_42
; %bb.41:
	v_lshlrev_b64 v[9:10], 2, v[9:10]
	v_mov_b32_e32 v12, s17
	v_add_co_u32_e32 v9, vcc, s16, v9
	v_addc_co_u32_e32 v10, vcc, v12, v10, vcc
	v_lshlrev_b32_e32 v11, 2, v11
	v_add_co_u32_e32 v9, vcc, v9, v11
	v_addc_co_u32_e32 v10, vcc, 0, v10, vcc
	global_load_dword v9, v[9:10], off
	s_waitcnt vmcnt(0)
	ds_write_b32 v13, v9 offset:512
.LBB21_42:
	s_or_b64 exec, exec, s[4:5]
	v_or_b32_e32 v11, 0x100, v0
	v_mov_b32_e32 v9, s26
	v_cmp_le_u32_e32 vcc, s33, v11
	s_mov_b64 s[2:3], -1
	v_mov_b32_e32 v10, s27
	s_and_saveexec_b64 s[4:5], vcc
; %bb.43:
	v_subrev_u32_e32 v11, s33, v11
	v_cmp_gt_u32_e32 vcc, s38, v11
	v_mov_b32_e32 v9, s28
	v_mov_b32_e32 v10, s29
	s_orn2_b64 s[2:3], vcc, exec
; %bb.44:
	s_or_b64 exec, exec, s[4:5]
	s_and_saveexec_b64 s[4:5], s[2:3]
	s_cbranch_execz .LBB21_46
; %bb.45:
	v_lshlrev_b64 v[9:10], 2, v[9:10]
	v_mov_b32_e32 v12, s17
	v_add_co_u32_e32 v9, vcc, s16, v9
	v_addc_co_u32_e32 v10, vcc, v12, v10, vcc
	v_lshlrev_b32_e32 v11, 2, v11
	v_add_co_u32_e32 v9, vcc, v9, v11
	v_addc_co_u32_e32 v10, vcc, 0, v10, vcc
	global_load_dword v9, v[9:10], off
	s_waitcnt vmcnt(0)
	ds_write_b32 v13, v9 offset:1024
.LBB21_46:
	;; [unrolled: 29-line block ×6, first 2 shown]
	s_or_b64 exec, exec, s[4:5]
	v_or_b32_e32 v23, 0x380, v0
	v_mov_b32_e32 v10, s9
	v_cmp_le_u32_e32 vcc, s33, v23
	s_mov_b64 s[4:5], -1
	v_mov_b32_e32 v9, s8
	v_mov_b32_e32 v11, v23
	s_and_saveexec_b64 s[2:3], vcc
; %bb.63:
	v_subrev_u32_e32 v11, s33, v23
	v_cmp_gt_u32_e32 vcc, s38, v11
	v_mov_b32_e32 v10, s7
	v_mov_b32_e32 v9, s6
	s_orn2_b64 s[4:5], vcc, exec
; %bb.64:
	s_or_b64 exec, exec, s[2:3]
.LBB21_65:
	s_and_saveexec_b64 s[2:3], s[4:5]
	s_cbranch_execz .LBB21_67
; %bb.66:
	v_mov_b32_e32 v12, 0
	v_lshlrev_b64 v[11:12], 2, v[11:12]
	v_add_co_u32_e32 v9, vcc, v9, v11
	v_addc_co_u32_e32 v10, vcc, v10, v12, vcc
	global_load_dword v9, v[9:10], off
	v_lshlrev_b32_e32 v10, 2, v23
	s_waitcnt vmcnt(0)
	ds_write_b32 v10, v9
.LBB21_67:
	s_or_b64 exec, exec, s[2:3]
	s_and_b64 vcc, exec, s[0:1]
	v_add_u32_e32 v9, s22, v14
	s_waitcnt lgkmcnt(0)
	s_barrier
	s_cbranch_vccnz .LBB21_69
; %bb.68:
	v_lshlrev_b32_e32 v23, 2, v22
	v_lshlrev_b32_e32 v24, 2, v21
	;; [unrolled: 1-line block ×7, first 2 shown]
	v_mov_b32_e32 v10, 0
	ds_read_b32 v23, v23
	ds_read_b32 v24, v24
	;; [unrolled: 1-line block ×7, first 2 shown]
	v_lshlrev_b64 v[11:12], 2, v[9:10]
	v_mov_b32_e32 v30, s19
	v_add_co_u32_e32 v11, vcc, s18, v11
	v_addc_co_u32_e32 v12, vcc, v30, v12, vcc
	s_mov_b64 s[0:1], -1
	s_waitcnt lgkmcnt(3)
	global_store_dwordx4 v[11:12], v[23:26], off
	s_waitcnt lgkmcnt(0)
	global_store_dwordx3 v[11:12], v[27:29], off offset:16
	s_cbranch_execz .LBB21_70
	s_branch .LBB21_87
.LBB21_69:
	s_mov_b64 s[0:1], 0
.LBB21_70:
	v_cmp_gt_u32_e32 vcc, s21, v14
	s_and_saveexec_b64 s[2:3], vcc
	s_cbranch_execz .LBB21_72
; %bb.71:
	v_lshlrev_b32_e32 v12, 2, v22
	v_mov_b32_e32 v10, 0
	ds_read_b32 v12, v12
	v_lshlrev_b64 v[10:11], 2, v[9:10]
	v_mov_b32_e32 v22, s19
	v_add_co_u32_e32 v10, vcc, s18, v10
	v_addc_co_u32_e32 v11, vcc, v22, v11, vcc
	s_waitcnt lgkmcnt(0)
	global_store_dword v[10:11], v12, off
.LBB21_72:
	s_or_b64 exec, exec, s[2:3]
	v_or_b32_e32 v10, 1, v14
	v_cmp_gt_u32_e32 vcc, s21, v10
	s_and_saveexec_b64 s[2:3], vcc
	s_cbranch_execz .LBB21_74
; %bb.73:
	v_lshlrev_b32_e32 v12, 2, v21
	v_mov_b32_e32 v10, 0
	ds_read_b32 v12, v12
	v_lshlrev_b64 v[10:11], 2, v[9:10]
	v_mov_b32_e32 v21, s19
	v_add_co_u32_e32 v10, vcc, s18, v10
	v_addc_co_u32_e32 v11, vcc, v21, v11, vcc
	s_waitcnt lgkmcnt(0)
	global_store_dword v[10:11], v12, off offset:4
.LBB21_74:
	s_or_b64 exec, exec, s[2:3]
	v_or_b32_e32 v10, 2, v14
	v_cmp_gt_u32_e32 vcc, s21, v10
	s_and_saveexec_b64 s[2:3], vcc
	s_cbranch_execz .LBB21_76
; %bb.75:
	v_lshlrev_b32_e32 v12, 2, v20
	v_mov_b32_e32 v10, 0
	ds_read_b32 v12, v12
	v_lshlrev_b64 v[10:11], 2, v[9:10]
	v_mov_b32_e32 v20, s19
	v_add_co_u32_e32 v10, vcc, s18, v10
	v_addc_co_u32_e32 v11, vcc, v20, v11, vcc
	s_waitcnt lgkmcnt(0)
	global_store_dword v[10:11], v12, off offset:8
.LBB21_76:
	;; [unrolled: 16-line block ×6, first 2 shown]
	s_or_b64 exec, exec, s[2:3]
	v_or_b32_e32 v10, 7, v14
	v_cmp_gt_u32_e32 vcc, s21, v10
	s_and_saveexec_b64 s[2:3], vcc
; %bb.85:
	v_mov_b32_e32 v10, 0
	s_or_b64 s[0:1], s[0:1], exec
; %bb.86:
	s_or_b64 exec, exec, s[2:3]
.LBB21_87:
	s_and_saveexec_b64 s[2:3], s[0:1]
	s_cbranch_execz .LBB21_89
; %bb.88:
	v_lshlrev_b32_e32 v11, 2, v15
	ds_read_b32 v11, v11
	v_lshlrev_b64 v[9:10], 2, v[9:10]
	v_mov_b32_e32 v12, s19
	v_add_co_u32_e32 v9, vcc, s18, v9
	v_addc_co_u32_e32 v10, vcc, v12, v10, vcc
	s_waitcnt lgkmcnt(0)
	global_store_dword v[9:10], v11, off offset:28
.LBB21_89:
	s_or_b64 exec, exec, s[2:3]
	v_and_b32_e32 v9, 0x7c, v0
	v_lshl_add_u32 v9, v14, 2, v9
	s_waitcnt vmcnt(0)
	s_barrier
	s_barrier
	ds_write2_b32 v9, v1, v2 offset1:1
	ds_write2_b32 v9, v3, v4 offset0:2 offset1:3
	ds_write2_b32 v9, v5, v6 offset0:4 offset1:5
	;; [unrolled: 1-line block ×3, first 2 shown]
	v_lshrrev_b32_e32 v1, 3, v0
	v_and_b32_e32 v1, 12, v1
	v_or_b32_e32 v10, 0x80, v0
	v_add_u32_e32 v11, v1, v13
	v_lshrrev_b32_e32 v1, 3, v10
	v_and_b32_e32 v1, 28, v1
	v_or_b32_e32 v9, 0x100, v0
	v_add_u32_e32 v12, v1, v13
	;; [unrolled: 4-line block ×5, first 2 shown]
	v_lshrrev_b32_e32 v1, 3, v5
	v_and_b32_e32 v1, 0x5c, v1
	v_or_b32_e32 v4, 0x300, v0
	s_mov_b32 s23, 0
	v_add_u32_e32 v17, v1, v13
	v_lshrrev_b32_e32 v1, 3, v4
	s_lshl_b64 s[0:1], s[22:23], 2
	v_and_b32_e32 v1, 0x6c, v1
	v_or_b32_e32 v3, 0x380, v0
	s_add_u32 s0, s14, s0
	v_add_u32_e32 v18, v1, v13
	v_lshrrev_b32_e32 v1, 3, v3
	s_addc_u32 s1, s15, s1
	v_and_b32_e32 v1, 0x7c, v1
	v_add_u32_e32 v19, v1, v13
	v_mov_b32_e32 v2, s1
	v_add_co_u32_e32 v1, vcc, s0, v13
	v_addc_co_u32_e32 v2, vcc, 0, v2, vcc
	s_and_b64 vcc, exec, s[24:25]
	s_waitcnt lgkmcnt(0)
	s_cbranch_vccz .LBB21_91
; %bb.90:
	s_barrier
	ds_read_b32 v13, v11
	ds_read_b32 v20, v12 offset:512
	ds_read_b32 v21, v14 offset:1024
	ds_read_b32 v22, v15 offset:1536
	ds_read_b32 v23, v16 offset:2048
	ds_read_b32 v24, v17 offset:2560
	ds_read_b32 v25, v18 offset:3072
	ds_read_b32 v7, v19 offset:3584
	s_waitcnt lgkmcnt(7)
	global_store_dword v[1:2], v13, off
	s_waitcnt lgkmcnt(6)
	global_store_dword v[1:2], v20, off offset:512
	s_waitcnt lgkmcnt(5)
	global_store_dword v[1:2], v21, off offset:1024
	;; [unrolled: 2-line block ×6, first 2 shown]
	s_mov_b64 s[0:1], -1
	s_cbranch_execz .LBB21_92
	s_branch .LBB21_101
.LBB21_91:
	s_mov_b64 s[0:1], 0
                                        ; implicit-def: $vgpr7
.LBB21_92:
	s_waitcnt vmcnt(0) lgkmcnt(0)
	s_barrier
	ds_read_b32 v21, v12 offset:512
	ds_read_b32 v20, v14 offset:1024
	;; [unrolled: 1-line block ×7, first 2 shown]
	s_sub_i32 s2, s20, s22
	v_cmp_gt_u32_e32 vcc, s2, v0
	s_and_saveexec_b64 s[0:1], vcc
	s_cbranch_execnz .LBB21_108
; %bb.93:
	s_or_b64 exec, exec, s[0:1]
	v_cmp_gt_u32_e32 vcc, s2, v10
	s_and_saveexec_b64 s[0:1], vcc
	s_cbranch_execnz .LBB21_109
.LBB21_94:
	s_or_b64 exec, exec, s[0:1]
	v_cmp_gt_u32_e32 vcc, s2, v9
	s_and_saveexec_b64 s[0:1], vcc
	s_cbranch_execnz .LBB21_110
.LBB21_95:
	s_or_b64 exec, exec, s[0:1]
	v_cmp_gt_u32_e32 vcc, s2, v8
	s_and_saveexec_b64 s[0:1], vcc
	s_cbranch_execnz .LBB21_111
.LBB21_96:
	s_or_b64 exec, exec, s[0:1]
	v_cmp_gt_u32_e32 vcc, s2, v6
	s_and_saveexec_b64 s[0:1], vcc
	s_cbranch_execnz .LBB21_112
.LBB21_97:
	s_or_b64 exec, exec, s[0:1]
	v_cmp_gt_u32_e32 vcc, s2, v5
	s_and_saveexec_b64 s[0:1], vcc
	s_cbranch_execnz .LBB21_113
.LBB21_98:
	s_or_b64 exec, exec, s[0:1]
	v_cmp_gt_u32_e32 vcc, s2, v4
	s_and_saveexec_b64 s[0:1], vcc
	s_cbranch_execz .LBB21_100
.LBB21_99:
	s_waitcnt lgkmcnt(1)
	global_store_dword v[1:2], v12, off offset:3072
.LBB21_100:
	s_or_b64 exec, exec, s[0:1]
	v_cmp_gt_u32_e64 s[0:1], s2, v3
.LBB21_101:
	s_and_saveexec_b64 s[2:3], s[0:1]
	s_cbranch_execz .LBB21_103
; %bb.102:
	s_waitcnt lgkmcnt(0)
	global_store_dword v[1:2], v7, off offset:3584
.LBB21_103:
	s_endpgm
.LBB21_104:
	v_subrev_u32_e32 v11, s33, v0
	v_cmp_gt_u32_e32 vcc, s38, v11
                                        ; implicit-def: $vgpr9_vgpr10
	s_and_saveexec_b64 s[10:11], vcc
	s_xor_b64 s[10:11], exec, s[10:11]
; %bb.105:
	v_lshlrev_b32_e32 v9, 2, v11
	v_mov_b32_e32 v10, s7
	v_add_co_u32_e32 v9, vcc, s6, v9
	s_mov_b64 s[4:5], exec
	v_addc_co_u32_e32 v10, vcc, 0, v10, vcc
; %bb.106:
	s_or_b64 exec, exec, s[10:11]
	s_and_b64 s[4:5], s[4:5], exec
	s_andn2_saveexec_b64 s[2:3], s[2:3]
	s_cbranch_execz .LBB21_36
.LBB21_107:
	v_mov_b32_e32 v10, s9
	v_add_co_u32_e32 v9, vcc, s8, v13
	v_addc_co_u32_e32 v10, vcc, 0, v10, vcc
	s_or_b64 s[4:5], s[4:5], exec
	s_or_b64 exec, exec, s[2:3]
	s_and_saveexec_b64 s[2:3], s[4:5]
	s_cbranch_execnz .LBB21_37
	s_branch .LBB21_38
.LBB21_108:
	ds_read_b32 v0, v11
	s_waitcnt lgkmcnt(0)
	global_store_dword v[1:2], v0, off
	s_or_b64 exec, exec, s[0:1]
	v_cmp_gt_u32_e32 vcc, s2, v10
	s_and_saveexec_b64 s[0:1], vcc
	s_cbranch_execz .LBB21_94
.LBB21_109:
	s_waitcnt lgkmcnt(6)
	global_store_dword v[1:2], v21, off offset:512
	s_or_b64 exec, exec, s[0:1]
	v_cmp_gt_u32_e32 vcc, s2, v9
	s_and_saveexec_b64 s[0:1], vcc
	s_cbranch_execz .LBB21_95
.LBB21_110:
	s_waitcnt lgkmcnt(5)
	global_store_dword v[1:2], v20, off offset:1024
	s_or_b64 exec, exec, s[0:1]
	v_cmp_gt_u32_e32 vcc, s2, v8
	s_and_saveexec_b64 s[0:1], vcc
	s_cbranch_execz .LBB21_96
.LBB21_111:
	s_waitcnt lgkmcnt(4)
	global_store_dword v[1:2], v15, off offset:1536
	s_or_b64 exec, exec, s[0:1]
	v_cmp_gt_u32_e32 vcc, s2, v6
	s_and_saveexec_b64 s[0:1], vcc
	s_cbranch_execz .LBB21_97
.LBB21_112:
	s_waitcnt lgkmcnt(3)
	global_store_dword v[1:2], v14, off offset:2048
	s_or_b64 exec, exec, s[0:1]
	v_cmp_gt_u32_e32 vcc, s2, v5
	s_and_saveexec_b64 s[0:1], vcc
	s_cbranch_execz .LBB21_98
.LBB21_113:
	s_waitcnt lgkmcnt(2)
	global_store_dword v[1:2], v13, off offset:2560
	s_or_b64 exec, exec, s[0:1]
	v_cmp_gt_u32_e32 vcc, s2, v4
	s_and_saveexec_b64 s[0:1], vcc
	s_cbranch_execnz .LBB21_99
	s_branch .LBB21_100
	.section	.rodata,"a",@progbits
	.p2align	6, 0x0
	.amdhsa_kernel _ZN7rocprim17ROCPRIM_304000_NS6detail35device_block_merge_mergepath_kernelINS1_37wrapped_merge_sort_block_merge_configINS0_14default_configEiN2at4cuda3cub6detail10OpaqueTypeILi4EEEEEPiSC_PSA_SD_jNS1_19radix_merge_compareILb0ELb1EiNS0_19identity_decomposerEEEEEvT0_T1_T2_T3_T4_SL_jT5_PKSL_NS1_7vsmem_tE
		.amdhsa_group_segment_fixed_size 4224
		.amdhsa_private_segment_fixed_size 0
		.amdhsa_kernarg_size 320
		.amdhsa_user_sgpr_count 6
		.amdhsa_user_sgpr_private_segment_buffer 1
		.amdhsa_user_sgpr_dispatch_ptr 0
		.amdhsa_user_sgpr_queue_ptr 0
		.amdhsa_user_sgpr_kernarg_segment_ptr 1
		.amdhsa_user_sgpr_dispatch_id 0
		.amdhsa_user_sgpr_flat_scratch_init 0
		.amdhsa_user_sgpr_private_segment_size 0
		.amdhsa_uses_dynamic_stack 0
		.amdhsa_system_sgpr_private_segment_wavefront_offset 0
		.amdhsa_system_sgpr_workgroup_id_x 1
		.amdhsa_system_sgpr_workgroup_id_y 1
		.amdhsa_system_sgpr_workgroup_id_z 1
		.amdhsa_system_sgpr_workgroup_info 0
		.amdhsa_system_vgpr_workitem_id 0
		.amdhsa_next_free_vgpr 32
		.amdhsa_next_free_sgpr 61
		.amdhsa_reserve_vcc 1
		.amdhsa_reserve_flat_scratch 0
		.amdhsa_float_round_mode_32 0
		.amdhsa_float_round_mode_16_64 0
		.amdhsa_float_denorm_mode_32 3
		.amdhsa_float_denorm_mode_16_64 3
		.amdhsa_dx10_clamp 1
		.amdhsa_ieee_mode 1
		.amdhsa_fp16_overflow 0
		.amdhsa_exception_fp_ieee_invalid_op 0
		.amdhsa_exception_fp_denorm_src 0
		.amdhsa_exception_fp_ieee_div_zero 0
		.amdhsa_exception_fp_ieee_overflow 0
		.amdhsa_exception_fp_ieee_underflow 0
		.amdhsa_exception_fp_ieee_inexact 0
		.amdhsa_exception_int_div_zero 0
	.end_amdhsa_kernel
	.section	.text._ZN7rocprim17ROCPRIM_304000_NS6detail35device_block_merge_mergepath_kernelINS1_37wrapped_merge_sort_block_merge_configINS0_14default_configEiN2at4cuda3cub6detail10OpaqueTypeILi4EEEEEPiSC_PSA_SD_jNS1_19radix_merge_compareILb0ELb1EiNS0_19identity_decomposerEEEEEvT0_T1_T2_T3_T4_SL_jT5_PKSL_NS1_7vsmem_tE,"axG",@progbits,_ZN7rocprim17ROCPRIM_304000_NS6detail35device_block_merge_mergepath_kernelINS1_37wrapped_merge_sort_block_merge_configINS0_14default_configEiN2at4cuda3cub6detail10OpaqueTypeILi4EEEEEPiSC_PSA_SD_jNS1_19radix_merge_compareILb0ELb1EiNS0_19identity_decomposerEEEEEvT0_T1_T2_T3_T4_SL_jT5_PKSL_NS1_7vsmem_tE,comdat
.Lfunc_end21:
	.size	_ZN7rocprim17ROCPRIM_304000_NS6detail35device_block_merge_mergepath_kernelINS1_37wrapped_merge_sort_block_merge_configINS0_14default_configEiN2at4cuda3cub6detail10OpaqueTypeILi4EEEEEPiSC_PSA_SD_jNS1_19radix_merge_compareILb0ELb1EiNS0_19identity_decomposerEEEEEvT0_T1_T2_T3_T4_SL_jT5_PKSL_NS1_7vsmem_tE, .Lfunc_end21-_ZN7rocprim17ROCPRIM_304000_NS6detail35device_block_merge_mergepath_kernelINS1_37wrapped_merge_sort_block_merge_configINS0_14default_configEiN2at4cuda3cub6detail10OpaqueTypeILi4EEEEEPiSC_PSA_SD_jNS1_19radix_merge_compareILb0ELb1EiNS0_19identity_decomposerEEEEEvT0_T1_T2_T3_T4_SL_jT5_PKSL_NS1_7vsmem_tE
                                        ; -- End function
	.set _ZN7rocprim17ROCPRIM_304000_NS6detail35device_block_merge_mergepath_kernelINS1_37wrapped_merge_sort_block_merge_configINS0_14default_configEiN2at4cuda3cub6detail10OpaqueTypeILi4EEEEEPiSC_PSA_SD_jNS1_19radix_merge_compareILb0ELb1EiNS0_19identity_decomposerEEEEEvT0_T1_T2_T3_T4_SL_jT5_PKSL_NS1_7vsmem_tE.num_vgpr, 32
	.set _ZN7rocprim17ROCPRIM_304000_NS6detail35device_block_merge_mergepath_kernelINS1_37wrapped_merge_sort_block_merge_configINS0_14default_configEiN2at4cuda3cub6detail10OpaqueTypeILi4EEEEEPiSC_PSA_SD_jNS1_19radix_merge_compareILb0ELb1EiNS0_19identity_decomposerEEEEEvT0_T1_T2_T3_T4_SL_jT5_PKSL_NS1_7vsmem_tE.num_agpr, 0
	.set _ZN7rocprim17ROCPRIM_304000_NS6detail35device_block_merge_mergepath_kernelINS1_37wrapped_merge_sort_block_merge_configINS0_14default_configEiN2at4cuda3cub6detail10OpaqueTypeILi4EEEEEPiSC_PSA_SD_jNS1_19radix_merge_compareILb0ELb1EiNS0_19identity_decomposerEEEEEvT0_T1_T2_T3_T4_SL_jT5_PKSL_NS1_7vsmem_tE.numbered_sgpr, 39
	.set _ZN7rocprim17ROCPRIM_304000_NS6detail35device_block_merge_mergepath_kernelINS1_37wrapped_merge_sort_block_merge_configINS0_14default_configEiN2at4cuda3cub6detail10OpaqueTypeILi4EEEEEPiSC_PSA_SD_jNS1_19radix_merge_compareILb0ELb1EiNS0_19identity_decomposerEEEEEvT0_T1_T2_T3_T4_SL_jT5_PKSL_NS1_7vsmem_tE.num_named_barrier, 0
	.set _ZN7rocprim17ROCPRIM_304000_NS6detail35device_block_merge_mergepath_kernelINS1_37wrapped_merge_sort_block_merge_configINS0_14default_configEiN2at4cuda3cub6detail10OpaqueTypeILi4EEEEEPiSC_PSA_SD_jNS1_19radix_merge_compareILb0ELb1EiNS0_19identity_decomposerEEEEEvT0_T1_T2_T3_T4_SL_jT5_PKSL_NS1_7vsmem_tE.private_seg_size, 0
	.set _ZN7rocprim17ROCPRIM_304000_NS6detail35device_block_merge_mergepath_kernelINS1_37wrapped_merge_sort_block_merge_configINS0_14default_configEiN2at4cuda3cub6detail10OpaqueTypeILi4EEEEEPiSC_PSA_SD_jNS1_19radix_merge_compareILb0ELb1EiNS0_19identity_decomposerEEEEEvT0_T1_T2_T3_T4_SL_jT5_PKSL_NS1_7vsmem_tE.uses_vcc, 1
	.set _ZN7rocprim17ROCPRIM_304000_NS6detail35device_block_merge_mergepath_kernelINS1_37wrapped_merge_sort_block_merge_configINS0_14default_configEiN2at4cuda3cub6detail10OpaqueTypeILi4EEEEEPiSC_PSA_SD_jNS1_19radix_merge_compareILb0ELb1EiNS0_19identity_decomposerEEEEEvT0_T1_T2_T3_T4_SL_jT5_PKSL_NS1_7vsmem_tE.uses_flat_scratch, 0
	.set _ZN7rocprim17ROCPRIM_304000_NS6detail35device_block_merge_mergepath_kernelINS1_37wrapped_merge_sort_block_merge_configINS0_14default_configEiN2at4cuda3cub6detail10OpaqueTypeILi4EEEEEPiSC_PSA_SD_jNS1_19radix_merge_compareILb0ELb1EiNS0_19identity_decomposerEEEEEvT0_T1_T2_T3_T4_SL_jT5_PKSL_NS1_7vsmem_tE.has_dyn_sized_stack, 0
	.set _ZN7rocprim17ROCPRIM_304000_NS6detail35device_block_merge_mergepath_kernelINS1_37wrapped_merge_sort_block_merge_configINS0_14default_configEiN2at4cuda3cub6detail10OpaqueTypeILi4EEEEEPiSC_PSA_SD_jNS1_19radix_merge_compareILb0ELb1EiNS0_19identity_decomposerEEEEEvT0_T1_T2_T3_T4_SL_jT5_PKSL_NS1_7vsmem_tE.has_recursion, 0
	.set _ZN7rocprim17ROCPRIM_304000_NS6detail35device_block_merge_mergepath_kernelINS1_37wrapped_merge_sort_block_merge_configINS0_14default_configEiN2at4cuda3cub6detail10OpaqueTypeILi4EEEEEPiSC_PSA_SD_jNS1_19radix_merge_compareILb0ELb1EiNS0_19identity_decomposerEEEEEvT0_T1_T2_T3_T4_SL_jT5_PKSL_NS1_7vsmem_tE.has_indirect_call, 0
	.section	.AMDGPU.csdata,"",@progbits
; Kernel info:
; codeLenInByte = 6016
; TotalNumSgprs: 43
; NumVgprs: 32
; ScratchSize: 0
; MemoryBound: 0
; FloatMode: 240
; IeeeMode: 1
; LDSByteSize: 4224 bytes/workgroup (compile time only)
; SGPRBlocks: 8
; VGPRBlocks: 7
; NumSGPRsForWavesPerEU: 65
; NumVGPRsForWavesPerEU: 32
; Occupancy: 8
; WaveLimiterHint : 1
; COMPUTE_PGM_RSRC2:SCRATCH_EN: 0
; COMPUTE_PGM_RSRC2:USER_SGPR: 6
; COMPUTE_PGM_RSRC2:TRAP_HANDLER: 0
; COMPUTE_PGM_RSRC2:TGID_X_EN: 1
; COMPUTE_PGM_RSRC2:TGID_Y_EN: 1
; COMPUTE_PGM_RSRC2:TGID_Z_EN: 1
; COMPUTE_PGM_RSRC2:TIDIG_COMP_CNT: 0
	.section	.text._ZN7rocprim17ROCPRIM_304000_NS6detail33device_block_merge_oddeven_kernelINS1_37wrapped_merge_sort_block_merge_configINS0_14default_configEiN2at4cuda3cub6detail10OpaqueTypeILi4EEEEEPiSC_PSA_SD_jNS1_19radix_merge_compareILb0ELb1EiNS0_19identity_decomposerEEEEEvT0_T1_T2_T3_T4_SL_T5_,"axG",@progbits,_ZN7rocprim17ROCPRIM_304000_NS6detail33device_block_merge_oddeven_kernelINS1_37wrapped_merge_sort_block_merge_configINS0_14default_configEiN2at4cuda3cub6detail10OpaqueTypeILi4EEEEEPiSC_PSA_SD_jNS1_19radix_merge_compareILb0ELb1EiNS0_19identity_decomposerEEEEEvT0_T1_T2_T3_T4_SL_T5_,comdat
	.protected	_ZN7rocprim17ROCPRIM_304000_NS6detail33device_block_merge_oddeven_kernelINS1_37wrapped_merge_sort_block_merge_configINS0_14default_configEiN2at4cuda3cub6detail10OpaqueTypeILi4EEEEEPiSC_PSA_SD_jNS1_19radix_merge_compareILb0ELb1EiNS0_19identity_decomposerEEEEEvT0_T1_T2_T3_T4_SL_T5_ ; -- Begin function _ZN7rocprim17ROCPRIM_304000_NS6detail33device_block_merge_oddeven_kernelINS1_37wrapped_merge_sort_block_merge_configINS0_14default_configEiN2at4cuda3cub6detail10OpaqueTypeILi4EEEEEPiSC_PSA_SD_jNS1_19radix_merge_compareILb0ELb1EiNS0_19identity_decomposerEEEEEvT0_T1_T2_T3_T4_SL_T5_
	.globl	_ZN7rocprim17ROCPRIM_304000_NS6detail33device_block_merge_oddeven_kernelINS1_37wrapped_merge_sort_block_merge_configINS0_14default_configEiN2at4cuda3cub6detail10OpaqueTypeILi4EEEEEPiSC_PSA_SD_jNS1_19radix_merge_compareILb0ELb1EiNS0_19identity_decomposerEEEEEvT0_T1_T2_T3_T4_SL_T5_
	.p2align	8
	.type	_ZN7rocprim17ROCPRIM_304000_NS6detail33device_block_merge_oddeven_kernelINS1_37wrapped_merge_sort_block_merge_configINS0_14default_configEiN2at4cuda3cub6detail10OpaqueTypeILi4EEEEEPiSC_PSA_SD_jNS1_19radix_merge_compareILb0ELb1EiNS0_19identity_decomposerEEEEEvT0_T1_T2_T3_T4_SL_T5_,@function
_ZN7rocprim17ROCPRIM_304000_NS6detail33device_block_merge_oddeven_kernelINS1_37wrapped_merge_sort_block_merge_configINS0_14default_configEiN2at4cuda3cub6detail10OpaqueTypeILi4EEEEEPiSC_PSA_SD_jNS1_19radix_merge_compareILb0ELb1EiNS0_19identity_decomposerEEEEEvT0_T1_T2_T3_T4_SL_T5_: ; @_ZN7rocprim17ROCPRIM_304000_NS6detail33device_block_merge_oddeven_kernelINS1_37wrapped_merge_sort_block_merge_configINS0_14default_configEiN2at4cuda3cub6detail10OpaqueTypeILi4EEEEEPiSC_PSA_SD_jNS1_19radix_merge_compareILb0ELb1EiNS0_19identity_decomposerEEEEEvT0_T1_T2_T3_T4_SL_T5_
; %bb.0:
	s_load_dwordx4 s[16:19], s[4:5], 0x20
	s_waitcnt lgkmcnt(0)
	s_lshr_b32 s0, s16, 8
	s_cmp_eq_u32 s6, s0
	s_cselect_b64 s[20:21], -1, 0
	s_cmp_lg_u32 s6, s0
	s_cselect_b64 s[0:1], -1, 0
	s_lshl_b32 s22, s6, 8
	s_sub_i32 s2, s16, s22
	v_cmp_gt_u32_e64 s[2:3], s2, v0
	s_or_b64 s[0:1], s[0:1], s[2:3]
	s_and_saveexec_b64 s[8:9], s[0:1]
	s_cbranch_execz .LBB22_24
; %bb.1:
	s_load_dwordx8 s[8:15], s[4:5], 0x0
	s_mov_b32 s23, 0
	s_lshl_b64 s[0:1], s[22:23], 2
	v_lshlrev_b32_e32 v1, 2, v0
	v_add_u32_e32 v0, s22, v0
	s_waitcnt lgkmcnt(0)
	s_add_u32 s4, s8, s0
	s_addc_u32 s5, s9, s1
	s_add_u32 s0, s12, s0
	s_addc_u32 s1, s13, s1
	global_load_dword v2, v1, s[0:1]
	global_load_dword v3, v1, s[4:5]
	s_lshr_b32 s0, s17, 8
	s_sub_i32 s1, 0, s0
	s_and_b32 s1, s6, s1
	s_and_b32 s0, s1, s0
	s_lshl_b32 s13, s1, 8
	s_sub_i32 s6, 0, s17
	s_cmp_eq_u32 s0, 0
	s_cselect_b64 s[0:1], -1, 0
	s_and_b64 s[4:5], s[0:1], exec
	s_cselect_b32 s6, s17, s6
	s_add_i32 s6, s6, s13
	s_mov_b64 s[4:5], -1
	s_cmp_gt_u32 s16, s6
	s_cbranch_scc1 .LBB22_9
; %bb.2:
	s_and_b64 vcc, exec, s[20:21]
	s_cbranch_vccz .LBB22_6
; %bb.3:
	v_cmp_gt_u32_e32 vcc, s16, v0
	s_and_saveexec_b64 s[4:5], vcc
	s_cbranch_execz .LBB22_5
; %bb.4:
	v_mov_b32_e32 v1, 0
	v_lshlrev_b64 v[4:5], 2, v[0:1]
	v_mov_b32_e32 v1, s15
	v_add_co_u32_e32 v6, vcc, s14, v4
	v_addc_co_u32_e32 v7, vcc, v1, v5, vcc
	v_mov_b32_e32 v1, s11
	v_add_co_u32_e32 v4, vcc, s10, v4
	v_addc_co_u32_e32 v5, vcc, v1, v5, vcc
	s_waitcnt vmcnt(0)
	global_store_dword v[4:5], v3, off
	global_store_dword v[6:7], v2, off
.LBB22_5:
	s_or_b64 exec, exec, s[4:5]
	s_mov_b64 s[4:5], 0
.LBB22_6:
	s_andn2_b64 vcc, exec, s[4:5]
	s_cbranch_vccnz .LBB22_8
; %bb.7:
	v_mov_b32_e32 v1, 0
	v_lshlrev_b64 v[4:5], 2, v[0:1]
	v_mov_b32_e32 v1, s11
	v_add_co_u32_e32 v6, vcc, s10, v4
	v_addc_co_u32_e32 v7, vcc, v1, v5, vcc
	v_mov_b32_e32 v1, s15
	v_add_co_u32_e32 v4, vcc, s14, v4
	v_addc_co_u32_e32 v5, vcc, v1, v5, vcc
	s_waitcnt vmcnt(0)
	global_store_dword v[6:7], v3, off
	global_store_dword v[4:5], v2, off
.LBB22_8:
	s_mov_b64 s[4:5], 0
.LBB22_9:
	s_andn2_b64 vcc, exec, s[4:5]
	s_cbranch_vccnz .LBB22_24
; %bb.10:
	s_min_u32 s7, s6, s16
	s_add_i32 s4, s7, s17
	s_min_u32 s12, s4, s16
	s_min_u32 s4, s13, s7
	s_add_i32 s13, s13, s7
	v_subrev_u32_e32 v0, s13, v0
	v_add_u32_e32 v4, s4, v0
	s_waitcnt vmcnt(0)
	v_and_b32_e32 v5, s18, v3
	s_mov_b64 s[4:5], -1
	s_and_b64 vcc, exec, s[20:21]
	s_cbranch_vccz .LBB22_18
; %bb.11:
	s_and_saveexec_b64 s[4:5], s[2:3]
	s_cbranch_execz .LBB22_17
; %bb.12:
	s_cmp_ge_u32 s6, s12
	v_mov_b32_e32 v6, s7
	s_cbranch_scc1 .LBB22_16
; %bb.13:
	s_mov_b64 s[2:3], 0
	v_mov_b32_e32 v7, s12
	v_mov_b32_e32 v6, s7
	;; [unrolled: 1-line block ×4, first 2 shown]
.LBB22_14:                              ; =>This Inner Loop Header: Depth=1
	v_add_u32_e32 v0, v6, v7
	v_lshrrev_b32_e32 v0, 1, v0
	v_lshlrev_b64 v[9:10], 2, v[0:1]
	v_add_co_u32_e32 v9, vcc, s8, v9
	v_addc_co_u32_e32 v10, vcc, v8, v10, vcc
	global_load_dword v9, v[9:10], off
	v_add_u32_e32 v10, 1, v0
	s_waitcnt vmcnt(0)
	v_and_b32_e32 v9, s18, v9
	v_cmp_gt_i32_e32 vcc, v5, v9
	v_cndmask_b32_e64 v11, 0, 1, vcc
	v_cmp_le_i32_e32 vcc, v9, v5
	v_cndmask_b32_e64 v9, 0, 1, vcc
	v_cndmask_b32_e64 v9, v9, v11, s[0:1]
	v_and_b32_e32 v9, 1, v9
	v_cmp_eq_u32_e32 vcc, 1, v9
	v_cndmask_b32_e32 v7, v0, v7, vcc
	v_cndmask_b32_e32 v6, v6, v10, vcc
	v_cmp_ge_u32_e32 vcc, v6, v7
	s_or_b64 s[2:3], vcc, s[2:3]
	s_andn2_b64 exec, exec, s[2:3]
	s_cbranch_execnz .LBB22_14
; %bb.15:
	s_or_b64 exec, exec, s[2:3]
.LBB22_16:
	v_add_u32_e32 v0, v6, v4
	v_mov_b32_e32 v1, 0
	v_lshlrev_b64 v[0:1], 2, v[0:1]
	v_mov_b32_e32 v7, s11
	v_add_co_u32_e32 v6, vcc, s10, v0
	v_addc_co_u32_e32 v7, vcc, v7, v1, vcc
	global_store_dword v[6:7], v3, off
	v_mov_b32_e32 v6, s15
	v_add_co_u32_e32 v0, vcc, s14, v0
	v_addc_co_u32_e32 v1, vcc, v6, v1, vcc
	global_store_dword v[0:1], v2, off
.LBB22_17:
	s_or_b64 exec, exec, s[4:5]
	s_mov_b64 s[4:5], 0
.LBB22_18:
	s_andn2_b64 vcc, exec, s[4:5]
	s_cbranch_vccnz .LBB22_24
; %bb.19:
	s_cmp_ge_u32 s6, s12
	v_mov_b32_e32 v6, s7
	s_cbranch_scc1 .LBB22_23
; %bb.20:
	s_mov_b64 s[2:3], 0
	v_mov_b32_e32 v7, s12
	v_mov_b32_e32 v6, s7
	;; [unrolled: 1-line block ×4, first 2 shown]
.LBB22_21:                              ; =>This Inner Loop Header: Depth=1
	v_add_u32_e32 v0, v6, v7
	v_lshrrev_b32_e32 v0, 1, v0
	v_lshlrev_b64 v[9:10], 2, v[0:1]
	v_add_co_u32_e32 v9, vcc, s8, v9
	v_addc_co_u32_e32 v10, vcc, v8, v10, vcc
	global_load_dword v9, v[9:10], off
	v_add_u32_e32 v10, 1, v0
	s_waitcnt vmcnt(0)
	v_and_b32_e32 v9, s18, v9
	v_cmp_gt_i32_e32 vcc, v5, v9
	v_cndmask_b32_e64 v11, 0, 1, vcc
	v_cmp_le_i32_e32 vcc, v9, v5
	v_cndmask_b32_e64 v9, 0, 1, vcc
	v_cndmask_b32_e64 v9, v9, v11, s[0:1]
	v_and_b32_e32 v9, 1, v9
	v_cmp_eq_u32_e32 vcc, 1, v9
	v_cndmask_b32_e32 v7, v0, v7, vcc
	v_cndmask_b32_e32 v6, v6, v10, vcc
	v_cmp_ge_u32_e32 vcc, v6, v7
	s_or_b64 s[2:3], vcc, s[2:3]
	s_andn2_b64 exec, exec, s[2:3]
	s_cbranch_execnz .LBB22_21
; %bb.22:
	s_or_b64 exec, exec, s[2:3]
.LBB22_23:
	v_add_u32_e32 v0, v6, v4
	v_mov_b32_e32 v1, 0
	v_lshlrev_b64 v[0:1], 2, v[0:1]
	v_mov_b32_e32 v5, s11
	v_add_co_u32_e32 v4, vcc, s10, v0
	v_addc_co_u32_e32 v5, vcc, v5, v1, vcc
	global_store_dword v[4:5], v3, off
	v_mov_b32_e32 v3, s15
	v_add_co_u32_e32 v0, vcc, s14, v0
	v_addc_co_u32_e32 v1, vcc, v3, v1, vcc
	global_store_dword v[0:1], v2, off
.LBB22_24:
	s_endpgm
	.section	.rodata,"a",@progbits
	.p2align	6, 0x0
	.amdhsa_kernel _ZN7rocprim17ROCPRIM_304000_NS6detail33device_block_merge_oddeven_kernelINS1_37wrapped_merge_sort_block_merge_configINS0_14default_configEiN2at4cuda3cub6detail10OpaqueTypeILi4EEEEEPiSC_PSA_SD_jNS1_19radix_merge_compareILb0ELb1EiNS0_19identity_decomposerEEEEEvT0_T1_T2_T3_T4_SL_T5_
		.amdhsa_group_segment_fixed_size 0
		.amdhsa_private_segment_fixed_size 0
		.amdhsa_kernarg_size 44
		.amdhsa_user_sgpr_count 6
		.amdhsa_user_sgpr_private_segment_buffer 1
		.amdhsa_user_sgpr_dispatch_ptr 0
		.amdhsa_user_sgpr_queue_ptr 0
		.amdhsa_user_sgpr_kernarg_segment_ptr 1
		.amdhsa_user_sgpr_dispatch_id 0
		.amdhsa_user_sgpr_flat_scratch_init 0
		.amdhsa_user_sgpr_private_segment_size 0
		.amdhsa_uses_dynamic_stack 0
		.amdhsa_system_sgpr_private_segment_wavefront_offset 0
		.amdhsa_system_sgpr_workgroup_id_x 1
		.amdhsa_system_sgpr_workgroup_id_y 0
		.amdhsa_system_sgpr_workgroup_id_z 0
		.amdhsa_system_sgpr_workgroup_info 0
		.amdhsa_system_vgpr_workitem_id 0
		.amdhsa_next_free_vgpr 12
		.amdhsa_next_free_sgpr 24
		.amdhsa_reserve_vcc 1
		.amdhsa_reserve_flat_scratch 0
		.amdhsa_float_round_mode_32 0
		.amdhsa_float_round_mode_16_64 0
		.amdhsa_float_denorm_mode_32 3
		.amdhsa_float_denorm_mode_16_64 3
		.amdhsa_dx10_clamp 1
		.amdhsa_ieee_mode 1
		.amdhsa_fp16_overflow 0
		.amdhsa_exception_fp_ieee_invalid_op 0
		.amdhsa_exception_fp_denorm_src 0
		.amdhsa_exception_fp_ieee_div_zero 0
		.amdhsa_exception_fp_ieee_overflow 0
		.amdhsa_exception_fp_ieee_underflow 0
		.amdhsa_exception_fp_ieee_inexact 0
		.amdhsa_exception_int_div_zero 0
	.end_amdhsa_kernel
	.section	.text._ZN7rocprim17ROCPRIM_304000_NS6detail33device_block_merge_oddeven_kernelINS1_37wrapped_merge_sort_block_merge_configINS0_14default_configEiN2at4cuda3cub6detail10OpaqueTypeILi4EEEEEPiSC_PSA_SD_jNS1_19radix_merge_compareILb0ELb1EiNS0_19identity_decomposerEEEEEvT0_T1_T2_T3_T4_SL_T5_,"axG",@progbits,_ZN7rocprim17ROCPRIM_304000_NS6detail33device_block_merge_oddeven_kernelINS1_37wrapped_merge_sort_block_merge_configINS0_14default_configEiN2at4cuda3cub6detail10OpaqueTypeILi4EEEEEPiSC_PSA_SD_jNS1_19radix_merge_compareILb0ELb1EiNS0_19identity_decomposerEEEEEvT0_T1_T2_T3_T4_SL_T5_,comdat
.Lfunc_end22:
	.size	_ZN7rocprim17ROCPRIM_304000_NS6detail33device_block_merge_oddeven_kernelINS1_37wrapped_merge_sort_block_merge_configINS0_14default_configEiN2at4cuda3cub6detail10OpaqueTypeILi4EEEEEPiSC_PSA_SD_jNS1_19radix_merge_compareILb0ELb1EiNS0_19identity_decomposerEEEEEvT0_T1_T2_T3_T4_SL_T5_, .Lfunc_end22-_ZN7rocprim17ROCPRIM_304000_NS6detail33device_block_merge_oddeven_kernelINS1_37wrapped_merge_sort_block_merge_configINS0_14default_configEiN2at4cuda3cub6detail10OpaqueTypeILi4EEEEEPiSC_PSA_SD_jNS1_19radix_merge_compareILb0ELb1EiNS0_19identity_decomposerEEEEEvT0_T1_T2_T3_T4_SL_T5_
                                        ; -- End function
	.set _ZN7rocprim17ROCPRIM_304000_NS6detail33device_block_merge_oddeven_kernelINS1_37wrapped_merge_sort_block_merge_configINS0_14default_configEiN2at4cuda3cub6detail10OpaqueTypeILi4EEEEEPiSC_PSA_SD_jNS1_19radix_merge_compareILb0ELb1EiNS0_19identity_decomposerEEEEEvT0_T1_T2_T3_T4_SL_T5_.num_vgpr, 12
	.set _ZN7rocprim17ROCPRIM_304000_NS6detail33device_block_merge_oddeven_kernelINS1_37wrapped_merge_sort_block_merge_configINS0_14default_configEiN2at4cuda3cub6detail10OpaqueTypeILi4EEEEEPiSC_PSA_SD_jNS1_19radix_merge_compareILb0ELb1EiNS0_19identity_decomposerEEEEEvT0_T1_T2_T3_T4_SL_T5_.num_agpr, 0
	.set _ZN7rocprim17ROCPRIM_304000_NS6detail33device_block_merge_oddeven_kernelINS1_37wrapped_merge_sort_block_merge_configINS0_14default_configEiN2at4cuda3cub6detail10OpaqueTypeILi4EEEEEPiSC_PSA_SD_jNS1_19radix_merge_compareILb0ELb1EiNS0_19identity_decomposerEEEEEvT0_T1_T2_T3_T4_SL_T5_.numbered_sgpr, 24
	.set _ZN7rocprim17ROCPRIM_304000_NS6detail33device_block_merge_oddeven_kernelINS1_37wrapped_merge_sort_block_merge_configINS0_14default_configEiN2at4cuda3cub6detail10OpaqueTypeILi4EEEEEPiSC_PSA_SD_jNS1_19radix_merge_compareILb0ELb1EiNS0_19identity_decomposerEEEEEvT0_T1_T2_T3_T4_SL_T5_.num_named_barrier, 0
	.set _ZN7rocprim17ROCPRIM_304000_NS6detail33device_block_merge_oddeven_kernelINS1_37wrapped_merge_sort_block_merge_configINS0_14default_configEiN2at4cuda3cub6detail10OpaqueTypeILi4EEEEEPiSC_PSA_SD_jNS1_19radix_merge_compareILb0ELb1EiNS0_19identity_decomposerEEEEEvT0_T1_T2_T3_T4_SL_T5_.private_seg_size, 0
	.set _ZN7rocprim17ROCPRIM_304000_NS6detail33device_block_merge_oddeven_kernelINS1_37wrapped_merge_sort_block_merge_configINS0_14default_configEiN2at4cuda3cub6detail10OpaqueTypeILi4EEEEEPiSC_PSA_SD_jNS1_19radix_merge_compareILb0ELb1EiNS0_19identity_decomposerEEEEEvT0_T1_T2_T3_T4_SL_T5_.uses_vcc, 1
	.set _ZN7rocprim17ROCPRIM_304000_NS6detail33device_block_merge_oddeven_kernelINS1_37wrapped_merge_sort_block_merge_configINS0_14default_configEiN2at4cuda3cub6detail10OpaqueTypeILi4EEEEEPiSC_PSA_SD_jNS1_19radix_merge_compareILb0ELb1EiNS0_19identity_decomposerEEEEEvT0_T1_T2_T3_T4_SL_T5_.uses_flat_scratch, 0
	.set _ZN7rocprim17ROCPRIM_304000_NS6detail33device_block_merge_oddeven_kernelINS1_37wrapped_merge_sort_block_merge_configINS0_14default_configEiN2at4cuda3cub6detail10OpaqueTypeILi4EEEEEPiSC_PSA_SD_jNS1_19radix_merge_compareILb0ELb1EiNS0_19identity_decomposerEEEEEvT0_T1_T2_T3_T4_SL_T5_.has_dyn_sized_stack, 0
	.set _ZN7rocprim17ROCPRIM_304000_NS6detail33device_block_merge_oddeven_kernelINS1_37wrapped_merge_sort_block_merge_configINS0_14default_configEiN2at4cuda3cub6detail10OpaqueTypeILi4EEEEEPiSC_PSA_SD_jNS1_19radix_merge_compareILb0ELb1EiNS0_19identity_decomposerEEEEEvT0_T1_T2_T3_T4_SL_T5_.has_recursion, 0
	.set _ZN7rocprim17ROCPRIM_304000_NS6detail33device_block_merge_oddeven_kernelINS1_37wrapped_merge_sort_block_merge_configINS0_14default_configEiN2at4cuda3cub6detail10OpaqueTypeILi4EEEEEPiSC_PSA_SD_jNS1_19radix_merge_compareILb0ELb1EiNS0_19identity_decomposerEEEEEvT0_T1_T2_T3_T4_SL_T5_.has_indirect_call, 0
	.section	.AMDGPU.csdata,"",@progbits
; Kernel info:
; codeLenInByte = 812
; TotalNumSgprs: 28
; NumVgprs: 12
; ScratchSize: 0
; MemoryBound: 0
; FloatMode: 240
; IeeeMode: 1
; LDSByteSize: 0 bytes/workgroup (compile time only)
; SGPRBlocks: 3
; VGPRBlocks: 2
; NumSGPRsForWavesPerEU: 28
; NumVGPRsForWavesPerEU: 12
; Occupancy: 10
; WaveLimiterHint : 0
; COMPUTE_PGM_RSRC2:SCRATCH_EN: 0
; COMPUTE_PGM_RSRC2:USER_SGPR: 6
; COMPUTE_PGM_RSRC2:TRAP_HANDLER: 0
; COMPUTE_PGM_RSRC2:TGID_X_EN: 1
; COMPUTE_PGM_RSRC2:TGID_Y_EN: 0
; COMPUTE_PGM_RSRC2:TGID_Z_EN: 0
; COMPUTE_PGM_RSRC2:TIDIG_COMP_CNT: 0
	.section	.text._ZN7rocprim17ROCPRIM_304000_NS6detail26onesweep_histograms_kernelINS1_34wrapped_radix_sort_onesweep_configINS0_14default_configEiN2at4cuda3cub6detail10OpaqueTypeILi4EEEEELb0EPKimNS0_19identity_decomposerEEEvT1_PT2_SG_SG_T3_jj,"axG",@progbits,_ZN7rocprim17ROCPRIM_304000_NS6detail26onesweep_histograms_kernelINS1_34wrapped_radix_sort_onesweep_configINS0_14default_configEiN2at4cuda3cub6detail10OpaqueTypeILi4EEEEELb0EPKimNS0_19identity_decomposerEEEvT1_PT2_SG_SG_T3_jj,comdat
	.protected	_ZN7rocprim17ROCPRIM_304000_NS6detail26onesweep_histograms_kernelINS1_34wrapped_radix_sort_onesweep_configINS0_14default_configEiN2at4cuda3cub6detail10OpaqueTypeILi4EEEEELb0EPKimNS0_19identity_decomposerEEEvT1_PT2_SG_SG_T3_jj ; -- Begin function _ZN7rocprim17ROCPRIM_304000_NS6detail26onesweep_histograms_kernelINS1_34wrapped_radix_sort_onesweep_configINS0_14default_configEiN2at4cuda3cub6detail10OpaqueTypeILi4EEEEELb0EPKimNS0_19identity_decomposerEEEvT1_PT2_SG_SG_T3_jj
	.globl	_ZN7rocprim17ROCPRIM_304000_NS6detail26onesweep_histograms_kernelINS1_34wrapped_radix_sort_onesweep_configINS0_14default_configEiN2at4cuda3cub6detail10OpaqueTypeILi4EEEEELb0EPKimNS0_19identity_decomposerEEEvT1_PT2_SG_SG_T3_jj
	.p2align	8
	.type	_ZN7rocprim17ROCPRIM_304000_NS6detail26onesweep_histograms_kernelINS1_34wrapped_radix_sort_onesweep_configINS0_14default_configEiN2at4cuda3cub6detail10OpaqueTypeILi4EEEEELb0EPKimNS0_19identity_decomposerEEEvT1_PT2_SG_SG_T3_jj,@function
_ZN7rocprim17ROCPRIM_304000_NS6detail26onesweep_histograms_kernelINS1_34wrapped_radix_sort_onesweep_configINS0_14default_configEiN2at4cuda3cub6detail10OpaqueTypeILi4EEEEELb0EPKimNS0_19identity_decomposerEEEvT1_PT2_SG_SG_T3_jj: ; @_ZN7rocprim17ROCPRIM_304000_NS6detail26onesweep_histograms_kernelINS1_34wrapped_radix_sort_onesweep_configINS0_14default_configEiN2at4cuda3cub6detail10OpaqueTypeILi4EEEEELb0EPKimNS0_19identity_decomposerEEEvT1_PT2_SG_SG_T3_jj
; %bb.0:
	s_load_dwordx8 s[24:31], s[4:5], 0x0
	s_load_dwordx2 s[34:35], s[4:5], 0x24
	v_mov_b32_e32 v1, s6
	s_mul_hi_u32 s0, s6, 0x6000
	s_mulk_i32 s6, 0x6000
	s_waitcnt lgkmcnt(0)
	s_add_u32 s1, s24, s6
	v_mov_b32_e32 v2, 0
	s_addc_u32 s0, s25, s0
	v_lshlrev_b32_e32 v6, 2, v0
	v_cmp_le_u64_e32 vcc, s[30:31], v[1:2]
	v_mov_b32_e32 v2, s0
	v_add_co_u32_e64 v1, s[0:1], s1, v6
	v_addc_co_u32_e64 v2, s[0:1], 0, v2, s[0:1]
	v_and_b32_e32 v5, 3, v0
	s_mov_b64 s[0:1], -1
	s_cbranch_vccz .LBB23_83
; %bb.1:
	s_mul_i32 s24, s30, 0xffffe800
	s_add_i32 s24, s24, s28
	v_cmp_gt_u32_e64 s[22:23], s24, v0
                                        ; implicit-def: $vgpr17
	s_and_saveexec_b64 s[0:1], s[22:23]
	s_cbranch_execz .LBB23_3
; %bb.2:
	global_load_dword v3, v[1:2], off
	s_waitcnt vmcnt(0)
	v_xor_b32_e32 v17, 0x80000000, v3
.LBB23_3:
	s_or_b64 exec, exec, s[0:1]
	v_or_b32_e32 v3, 0x200, v0
	v_cmp_gt_u32_e64 s[20:21], s24, v3
                                        ; implicit-def: $vgpr16
	s_and_saveexec_b64 s[0:1], s[20:21]
	s_cbranch_execz .LBB23_5
; %bb.4:
	global_load_dword v3, v[1:2], off offset:2048
	s_waitcnt vmcnt(0)
	v_xor_b32_e32 v16, 0x80000000, v3
.LBB23_5:
	s_or_b64 exec, exec, s[0:1]
	v_or_b32_e32 v3, 0x400, v0
	v_cmp_gt_u32_e64 s[18:19], s24, v3
                                        ; implicit-def: $vgpr15
	s_and_saveexec_b64 s[0:1], s[18:19]
	s_cbranch_execz .LBB23_7
; %bb.6:
	v_add_co_u32_e32 v3, vcc, 0x1000, v1
	v_addc_co_u32_e32 v4, vcc, 0, v2, vcc
	global_load_dword v3, v[3:4], off
	s_waitcnt vmcnt(0)
	v_xor_b32_e32 v15, 0x80000000, v3
.LBB23_7:
	s_or_b64 exec, exec, s[0:1]
	v_or_b32_e32 v3, 0x600, v0
	v_cmp_gt_u32_e64 s[16:17], s24, v3
                                        ; implicit-def: $vgpr14
	s_and_saveexec_b64 s[0:1], s[16:17]
	s_cbranch_execz .LBB23_9
; %bb.8:
	v_add_co_u32_e32 v3, vcc, 0x1000, v1
	v_addc_co_u32_e32 v4, vcc, 0, v2, vcc
	global_load_dword v3, v[3:4], off offset:2048
	s_waitcnt vmcnt(0)
	v_xor_b32_e32 v14, 0x80000000, v3
.LBB23_9:
	s_or_b64 exec, exec, s[0:1]
	v_or_b32_e32 v3, 0x800, v0
	v_cmp_gt_u32_e64 s[14:15], s24, v3
                                        ; implicit-def: $vgpr13
	s_and_saveexec_b64 s[0:1], s[14:15]
	s_cbranch_execz .LBB23_11
; %bb.10:
	v_add_co_u32_e32 v3, vcc, 0x2000, v1
	v_addc_co_u32_e32 v4, vcc, 0, v2, vcc
	global_load_dword v3, v[3:4], off
	s_waitcnt vmcnt(0)
	v_xor_b32_e32 v13, 0x80000000, v3
.LBB23_11:
	s_or_b64 exec, exec, s[0:1]
	v_or_b32_e32 v3, 0xa00, v0
	v_cmp_gt_u32_e64 s[12:13], s24, v3
                                        ; implicit-def: $vgpr12
	s_and_saveexec_b64 s[0:1], s[12:13]
	s_cbranch_execz .LBB23_13
; %bb.12:
	v_add_co_u32_e32 v3, vcc, 0x2000, v1
	v_addc_co_u32_e32 v4, vcc, 0, v2, vcc
	global_load_dword v3, v[3:4], off offset:2048
	s_waitcnt vmcnt(0)
	v_xor_b32_e32 v12, 0x80000000, v3
.LBB23_13:
	s_or_b64 exec, exec, s[0:1]
	v_or_b32_e32 v3, 0xc00, v0
	v_cmp_gt_u32_e64 s[10:11], s24, v3
                                        ; implicit-def: $vgpr10
	s_and_saveexec_b64 s[0:1], s[10:11]
	s_cbranch_execz .LBB23_15
; %bb.14:
	v_add_co_u32_e32 v3, vcc, 0x3000, v1
	v_addc_co_u32_e32 v4, vcc, 0, v2, vcc
	global_load_dword v3, v[3:4], off
	s_waitcnt vmcnt(0)
	v_xor_b32_e32 v10, 0x80000000, v3
.LBB23_15:
	s_or_b64 exec, exec, s[0:1]
	v_or_b32_e32 v3, 0xe00, v0
	v_cmp_gt_u32_e64 s[8:9], s24, v3
                                        ; implicit-def: $vgpr9
	s_and_saveexec_b64 s[0:1], s[8:9]
	s_cbranch_execz .LBB23_17
; %bb.16:
	v_add_co_u32_e32 v3, vcc, 0x3000, v1
	v_addc_co_u32_e32 v4, vcc, 0, v2, vcc
	global_load_dword v3, v[3:4], off offset:2048
	s_waitcnt vmcnt(0)
	v_xor_b32_e32 v9, 0x80000000, v3
.LBB23_17:
	s_or_b64 exec, exec, s[0:1]
	v_or_b32_e32 v3, 0x1000, v0
	v_cmp_gt_u32_e64 s[6:7], s24, v3
                                        ; implicit-def: $vgpr8
	s_and_saveexec_b64 s[0:1], s[6:7]
	s_cbranch_execz .LBB23_19
; %bb.18:
	v_add_co_u32_e32 v3, vcc, 0x4000, v1
	v_addc_co_u32_e32 v4, vcc, 0, v2, vcc
	global_load_dword v3, v[3:4], off
	s_waitcnt vmcnt(0)
	v_xor_b32_e32 v8, 0x80000000, v3
.LBB23_19:
	s_or_b64 exec, exec, s[0:1]
	v_or_b32_e32 v3, 0x1200, v0
	v_cmp_gt_u32_e64 s[4:5], s24, v3
                                        ; implicit-def: $vgpr7
	s_and_saveexec_b64 s[0:1], s[4:5]
	s_cbranch_execz .LBB23_21
; %bb.20:
	v_add_co_u32_e32 v3, vcc, 0x4000, v1
	v_addc_co_u32_e32 v4, vcc, 0, v2, vcc
	global_load_dword v3, v[3:4], off offset:2048
	s_waitcnt vmcnt(0)
	v_xor_b32_e32 v7, 0x80000000, v3
.LBB23_21:
	s_or_b64 exec, exec, s[0:1]
	v_or_b32_e32 v3, 0x1400, v0
	v_cmp_gt_u32_e64 s[2:3], s24, v3
                                        ; implicit-def: $vgpr4
	s_and_saveexec_b64 s[0:1], s[2:3]
	s_cbranch_execz .LBB23_23
; %bb.22:
	v_add_co_u32_e32 v3, vcc, 0x5000, v1
	v_addc_co_u32_e32 v4, vcc, 0, v2, vcc
	global_load_dword v3, v[3:4], off
	s_waitcnt vmcnt(0)
	v_xor_b32_e32 v4, 0x80000000, v3
.LBB23_23:
	s_or_b64 exec, exec, s[0:1]
	v_or_b32_e32 v3, 0x1600, v0
	v_cmp_gt_u32_e64 s[0:1], s24, v3
                                        ; implicit-def: $vgpr3
	s_and_saveexec_b64 s[24:25], s[0:1]
	s_cbranch_execz .LBB23_25
; %bb.24:
	v_add_co_u32_e32 v18, vcc, 0x5000, v1
	v_addc_co_u32_e32 v19, vcc, 0, v2, vcc
	global_load_dword v3, v[18:19], off offset:2048
	s_waitcnt vmcnt(0)
	v_xor_b32_e32 v3, 0x80000000, v3
.LBB23_25:
	s_or_b64 exec, exec, s[24:25]
	s_movk_i32 s24, 0x380
	v_cmp_gt_u32_e32 vcc, s24, v0
	s_and_saveexec_b64 s[24:25], vcc
	s_cbranch_execz .LBB23_28
; %bb.26:
	v_or_b32_e32 v11, 0xfffffe00, v0
	v_lshlrev_b32_e32 v18, 2, v0
	s_mov_b64 s[28:29], 0
	v_mov_b32_e32 v19, 0
	s_movk_i32 s30, 0x17f
.LBB23_27:                              ; =>This Inner Loop Header: Depth=1
	v_add_u32_e32 v11, 0x200, v11
	v_cmp_lt_u32_e32 vcc, s30, v11
	ds_write_b32 v18, v19
	s_or_b64 s[28:29], vcc, s[28:29]
	v_add_u32_e32 v18, 0x800, v18
	s_andn2_b64 exec, exec, s[28:29]
	s_cbranch_execnz .LBB23_27
.LBB23_28:
	s_or_b64 exec, exec, s[24:25]
	s_cmp_gt_u32 s35, s34
	s_cselect_b64 s[24:25], -1, 0
	s_cmp_le_u32 s35, s34
	s_waitcnt lgkmcnt(0)
	s_barrier
	s_cbranch_scc1 .LBB23_77
; %bb.29:
	v_lshlrev_b32_e32 v11, 2, v5
	s_sub_i32 s30, s35, s34
	v_mov_b32_e32 v18, 1
	s_mov_b32 s31, s30
	v_mov_b32_e32 v19, v11
	s_mov_b32 s33, s34
	s_branch .LBB23_31
.LBB23_30:                              ;   in Loop: Header=BB23_31 Depth=1
	s_or_b64 exec, exec, s[28:29]
	s_add_i32 s33, s33, 5
	s_add_i32 s31, s31, -5
	s_cmp_lt_u32 s33, s35
	v_add_u32_e32 v19, 0x200, v19
	s_cbranch_scc0 .LBB23_33
.LBB23_31:                              ; =>This Inner Loop Header: Depth=1
	s_and_saveexec_b64 s[28:29], s[22:23]
	s_cbranch_execz .LBB23_30
; %bb.32:                               ;   in Loop: Header=BB23_31 Depth=1
	s_min_u32 s36, s31, 5
	v_lshrrev_b32_e32 v20, s33, v17
	v_bfe_u32 v20, v20, 0, s36
	v_lshl_add_u32 v20, v20, 4, v19
	ds_add_u32 v20, v18
	s_branch .LBB23_30
.LBB23_33:
	v_mov_b32_e32 v17, 1
	s_mov_b32 s28, s30
	v_mov_b32_e32 v18, v11
	s_mov_b32 s29, s34
	s_branch .LBB23_35
.LBB23_34:                              ;   in Loop: Header=BB23_35 Depth=1
	s_or_b64 exec, exec, s[22:23]
	s_add_i32 s29, s29, 5
	s_add_i32 s28, s28, -5
	s_cmp_lt_u32 s29, s35
	v_add_u32_e32 v18, 0x200, v18
	s_cbranch_scc0 .LBB23_37
.LBB23_35:                              ; =>This Inner Loop Header: Depth=1
	s_and_saveexec_b64 s[22:23], s[20:21]
	s_cbranch_execz .LBB23_34
; %bb.36:                               ;   in Loop: Header=BB23_35 Depth=1
	s_min_u32 s31, s28, 5
	v_lshrrev_b32_e32 v19, s29, v16
	v_bfe_u32 v19, v19, 0, s31
	v_lshl_add_u32 v19, v19, 4, v18
	ds_add_u32 v19, v17
	s_branch .LBB23_34
.LBB23_37:
	;; [unrolled: 23-line block ×11, first 2 shown]
	v_mov_b32_e32 v4, 1
	s_mov_b32 s4, s34
	s_branch .LBB23_75
.LBB23_74:                              ;   in Loop: Header=BB23_75 Depth=1
	s_or_b64 exec, exec, s[2:3]
	s_add_i32 s4, s4, 5
	s_add_i32 s30, s30, -5
	s_cmp_lt_u32 s4, s35
	v_add_u32_e32 v11, 0x200, v11
	s_cbranch_scc0 .LBB23_77
.LBB23_75:                              ; =>This Inner Loop Header: Depth=1
	s_and_saveexec_b64 s[2:3], s[0:1]
	s_cbranch_execz .LBB23_74
; %bb.76:                               ;   in Loop: Header=BB23_75 Depth=1
	s_min_u32 s5, s30, 5
	v_lshrrev_b32_e32 v7, s4, v3
	v_bfe_u32 v7, v7, 0, s5
	v_lshl_add_u32 v7, v7, 4, v11
	ds_add_u32 v7, v4
	s_branch .LBB23_74
.LBB23_77:
	s_and_b64 vcc, exec, s[24:25]
	s_waitcnt lgkmcnt(0)
	s_barrier
	s_cbranch_vccz .LBB23_82
; %bb.78:
	v_cmp_gt_u32_e32 vcc, 32, v0
	v_lshlrev_b32_e32 v7, 4, v0
	v_mov_b32_e32 v4, 0
	v_mov_b32_e32 v3, v0
	s_mov_b32 s4, s34
	s_branch .LBB23_80
.LBB23_79:                              ;   in Loop: Header=BB23_80 Depth=1
	s_or_b64 exec, exec, s[2:3]
	s_add_i32 s4, s4, 5
	v_add_u32_e32 v3, 32, v3
	s_cmp_lt_u32 s4, s35
	v_add_u32_e32 v7, 0x200, v7
	s_cbranch_scc0 .LBB23_82
.LBB23_80:                              ; =>This Inner Loop Header: Depth=1
	s_and_saveexec_b64 s[2:3], vcc
	s_cbranch_execz .LBB23_79
; %bb.81:                               ;   in Loop: Header=BB23_80 Depth=1
	ds_read2_b32 v[8:9], v7 offset1:1
	ds_read2_b32 v[10:11], v7 offset0:2 offset1:3
	v_lshlrev_b64 v[12:13], 3, v[3:4]
	v_mov_b32_e32 v14, s27
	s_waitcnt lgkmcnt(1)
	v_add_u32_e32 v8, v9, v8
	s_waitcnt lgkmcnt(0)
	v_add3_u32 v8, v8, v10, v11
	v_add_co_u32_e64 v10, s[0:1], s26, v12
	v_addc_co_u32_e64 v11, s[0:1], v14, v13, s[0:1]
	v_mov_b32_e32 v9, v4
	global_atomic_add_x2 v[10:11], v[8:9], off
	s_branch .LBB23_79
.LBB23_82:
	s_mov_b64 s[0:1], 0
.LBB23_83:
	s_and_b64 vcc, exec, s[0:1]
	s_cbranch_vccz .LBB23_125
; %bb.84:
	v_add_co_u32_e32 v3, vcc, 0x1000, v1
	v_addc_co_u32_e32 v4, vcc, 0, v2, vcc
	v_add_co_u32_e32 v7, vcc, 0x2000, v1
	v_addc_co_u32_e32 v8, vcc, 0, v2, vcc
	;; [unrolled: 2-line block ×3, first 2 shown]
	global_load_dword v16, v[1:2], off
	global_load_dword v15, v[1:2], off offset:2048
	global_load_dword v14, v[3:4], off
	global_load_dword v13, v[3:4], off offset:2048
	;; [unrolled: 2-line block ×4, first 2 shown]
	v_add_co_u32_e32 v17, vcc, 0x4000, v1
	v_addc_co_u32_e32 v18, vcc, 0, v2, vcc
	v_add_co_u32_e32 v1, vcc, 0x5000, v1
	v_addc_co_u32_e32 v2, vcc, 0, v2, vcc
	global_load_dword v8, v[17:18], off
	global_load_dword v7, v[17:18], off offset:2048
	global_load_dword v4, v[1:2], off
	global_load_dword v3, v[1:2], off offset:2048
	s_cmp_lg_u32 s34, 0
	s_cselect_b64 s[0:1], -1, 0
	s_cmp_lg_u32 s35, 32
	s_cselect_b64 s[2:3], -1, 0
	s_or_b64 s[4:5], s[0:1], s[2:3]
	s_movk_i32 s0, 0x380
	v_cmp_gt_u32_e64 s[0:1], s0, v0
	s_mov_b64 s[2:3], -1
	s_and_b64 vcc, exec, s[4:5]
	s_cbranch_vccz .LBB23_119
; %bb.85:
	s_and_saveexec_b64 s[2:3], s[0:1]
	s_cbranch_execz .LBB23_88
; %bb.86:
	v_or_b32_e32 v1, 0xfffffe00, v0
	v_lshlrev_b32_e32 v2, 2, v0
	s_mov_b64 s[4:5], 0
	v_mov_b32_e32 v17, 0
	s_movk_i32 s6, 0x17f
.LBB23_87:                              ; =>This Inner Loop Header: Depth=1
	v_add_u32_e32 v1, 0x200, v1
	v_cmp_lt_u32_e32 vcc, s6, v1
	ds_write_b32 v2, v17
	s_or_b64 s[4:5], vcc, s[4:5]
	v_add_u32_e32 v2, 0x800, v2
	s_andn2_b64 exec, exec, s[4:5]
	s_cbranch_execnz .LBB23_87
.LBB23_88:
	s_or_b64 exec, exec, s[2:3]
	s_cmp_gt_u32 s35, s34
	s_cselect_b64 s[2:3], -1, 0
	s_cmp_le_u32 s35, s34
	s_waitcnt vmcnt(0) lgkmcnt(0)
	s_barrier
	s_cbranch_scc1 .LBB23_113
; %bb.89:
	v_lshlrev_b32_e32 v1, 2, v5
	s_sub_i32 s4, s35, s34
	v_xor_b32_e32 v2, 0x80000000, v16
	v_mov_b32_e32 v17, 1
	s_mov_b32 s5, s4
	v_mov_b32_e32 v18, v1
	s_mov_b32 s6, s34
.LBB23_90:                              ; =>This Inner Loop Header: Depth=1
	s_min_u32 s7, s5, 5
	v_lshrrev_b32_e32 v19, s6, v2
	v_bfe_u32 v19, v19, 0, s7
	v_lshl_add_u32 v19, v19, 4, v18
	ds_add_u32 v19, v17
	s_add_i32 s6, s6, 5
	s_add_i32 s5, s5, -5
	s_cmp_lt_u32 s6, s35
	v_add_u32_e32 v18, 0x200, v18
	s_cbranch_scc1 .LBB23_90
; %bb.91:
	v_xor_b32_e32 v2, 0x80000000, v15
	v_mov_b32_e32 v17, 1
	s_mov_b32 s5, s4
	v_mov_b32_e32 v18, v1
	s_mov_b32 s6, s34
.LBB23_92:                              ; =>This Inner Loop Header: Depth=1
	s_min_u32 s7, s5, 5
	v_lshrrev_b32_e32 v19, s6, v2
	v_bfe_u32 v19, v19, 0, s7
	v_lshl_add_u32 v19, v19, 4, v18
	ds_add_u32 v19, v17
	s_add_i32 s6, s6, 5
	s_add_i32 s5, s5, -5
	s_cmp_lt_u32 s6, s35
	v_add_u32_e32 v18, 0x200, v18
	s_cbranch_scc1 .LBB23_92
; %bb.93:
	;; [unrolled: 17-line block ×5, first 2 shown]
	v_xor_b32_e32 v2, 0x80000000, v11
	v_mov_b32_e32 v17, 1
	s_mov_b32 s5, s4
	v_mov_b32_e32 v18, v1
	s_mov_b32 s6, s34
.LBB23_100:                             ; =>This Inner Loop Header: Depth=1
	s_min_u32 s7, s5, 5
	v_lshrrev_b32_e32 v19, s6, v2
	v_bfe_u32 v19, v19, 0, s7
	v_lshl_add_u32 v19, v19, 4, v18
	ds_add_u32 v19, v17
	s_add_i32 s6, s6, 5
	s_add_i32 s5, s5, -5
	s_cmp_lt_u32 s6, s35
	v_add_u32_e32 v18, 0x200, v18
	s_cbranch_scc1 .LBB23_100
; %bb.101:
	v_xor_b32_e32 v2, 0x80000000, v10
	v_mov_b32_e32 v17, 1
	s_mov_b32 s5, s4
	v_mov_b32_e32 v18, v1
	s_mov_b32 s6, s34
.LBB23_102:                             ; =>This Inner Loop Header: Depth=1
	s_min_u32 s7, s5, 5
	v_lshrrev_b32_e32 v19, s6, v2
	v_bfe_u32 v19, v19, 0, s7
	v_lshl_add_u32 v19, v19, 4, v18
	ds_add_u32 v19, v17
	s_add_i32 s6, s6, 5
	s_add_i32 s5, s5, -5
	s_cmp_lt_u32 s6, s35
	v_add_u32_e32 v18, 0x200, v18
	s_cbranch_scc1 .LBB23_102
; %bb.103:
	;; [unrolled: 17-line block ×6, first 2 shown]
	v_xor_b32_e32 v2, 0x80000000, v3
	v_mov_b32_e32 v17, 1
	s_mov_b32 s5, s34
.LBB23_112:                             ; =>This Inner Loop Header: Depth=1
	s_min_u32 s6, s4, 5
	v_lshrrev_b32_e32 v18, s5, v2
	v_bfe_u32 v18, v18, 0, s6
	v_lshl_add_u32 v18, v18, 4, v1
	ds_add_u32 v18, v17
	s_add_i32 s5, s5, 5
	s_add_i32 s4, s4, -5
	s_cmp_lt_u32 s5, s35
	v_add_u32_e32 v1, 0x200, v1
	s_cbranch_scc1 .LBB23_112
.LBB23_113:
	s_and_b64 vcc, exec, s[2:3]
	s_waitcnt lgkmcnt(0)
	s_barrier
	s_cbranch_vccz .LBB23_118
; %bb.114:
	v_cmp_gt_u32_e32 vcc, 32, v0
	v_lshlrev_b32_e32 v17, 4, v0
	v_mov_b32_e32 v2, 0
	v_mov_b32_e32 v1, v0
	s_branch .LBB23_116
.LBB23_115:                             ;   in Loop: Header=BB23_116 Depth=1
	s_or_b64 exec, exec, s[4:5]
	s_add_i32 s34, s34, 5
	v_add_u32_e32 v1, 32, v1
	s_cmp_ge_u32 s34, s35
	v_add_u32_e32 v17, 0x200, v17
	s_cbranch_scc1 .LBB23_118
.LBB23_116:                             ; =>This Inner Loop Header: Depth=1
	s_and_saveexec_b64 s[4:5], vcc
	s_cbranch_execz .LBB23_115
; %bb.117:                              ;   in Loop: Header=BB23_116 Depth=1
	ds_read2_b32 v[18:19], v17 offset1:1
	ds_read2_b32 v[20:21], v17 offset0:2 offset1:3
	v_lshlrev_b64 v[22:23], 3, v[1:2]
	v_mov_b32_e32 v24, s27
	s_waitcnt lgkmcnt(1)
	v_add_u32_e32 v18, v19, v18
	s_waitcnt lgkmcnt(0)
	v_add3_u32 v18, v18, v20, v21
	v_add_co_u32_e64 v20, s[2:3], s26, v22
	v_addc_co_u32_e64 v21, s[2:3], v24, v23, s[2:3]
	v_mov_b32_e32 v19, v2
	global_atomic_add_x2 v[20:21], v[18:19], off
	s_branch .LBB23_115
.LBB23_118:
	s_mov_b64 s[2:3], 0
.LBB23_119:
	s_and_b64 vcc, exec, s[2:3]
	s_cbranch_vccz .LBB23_125
; %bb.120:
	s_and_saveexec_b64 s[2:3], s[0:1]
	s_cbranch_execz .LBB23_123
; %bb.121:
	v_or_b32_e32 v1, 0xfffffe00, v0
	s_mov_b64 s[0:1], 0
	v_mov_b32_e32 v2, 0
	s_movk_i32 s4, 0x17f
.LBB23_122:                             ; =>This Inner Loop Header: Depth=1
	v_add_u32_e32 v1, 0x200, v1
	v_cmp_lt_u32_e32 vcc, s4, v1
	ds_write_b32 v6, v2
	s_or_b64 s[0:1], vcc, s[0:1]
	v_add_u32_e32 v6, 0x800, v6
	s_andn2_b64 exec, exec, s[0:1]
	s_cbranch_execnz .LBB23_122
.LBB23_123:
	s_or_b64 exec, exec, s[2:3]
	s_waitcnt vmcnt(11)
	v_lshlrev_b32_e32 v2, 4, v16
	v_lshlrev_b32_e32 v1, 2, v5
	s_movk_i32 s0, 0x1f0
	v_and_or_b32 v5, v2, s0, v1
	v_mov_b32_e32 v2, 1
	s_waitcnt vmcnt(0) lgkmcnt(0)
	s_barrier
	ds_add_u32 v5, v2
	v_lshrrev_b32_e32 v5, 1, v16
	v_and_or_b32 v5, v5, s0, v1
	ds_add_u32 v5, v2 offset:512
	v_lshrrev_b32_e32 v5, 6, v16
	v_and_or_b32 v5, v5, s0, v1
	ds_add_u32 v5, v2 offset:1024
	v_lshrrev_b32_e32 v5, 11, v16
	v_and_or_b32 v5, v5, s0, v1
	ds_add_u32 v5, v2 offset:1536
	v_lshrrev_b32_e32 v5, 16, v16
	v_and_or_b32 v5, v5, s0, v1
	ds_add_u32 v5, v2 offset:2048
	v_lshrrev_b32_e32 v5, 21, v16
	v_and_or_b32 v5, v5, s0, v1
	ds_add_u32 v5, v2 offset:2560
	v_lshrrev_b32_e32 v5, 26, v16
	v_and_b32_e32 v5, 48, v5
	v_xor_b32_e32 v5, 32, v5
	v_or_b32_e32 v5, v5, v1
	ds_add_u32 v5, v2 offset:3072
	v_lshlrev_b32_e32 v5, 4, v15
	v_and_or_b32 v5, v5, s0, v1
	ds_add_u32 v5, v2
	v_lshrrev_b32_e32 v5, 1, v15
	v_and_or_b32 v5, v5, s0, v1
	ds_add_u32 v5, v2 offset:512
	v_lshrrev_b32_e32 v5, 6, v15
	v_and_or_b32 v5, v5, s0, v1
	ds_add_u32 v5, v2 offset:1024
	v_lshrrev_b32_e32 v5, 11, v15
	v_and_or_b32 v5, v5, s0, v1
	ds_add_u32 v5, v2 offset:1536
	v_lshrrev_b32_e32 v5, 16, v15
	v_and_or_b32 v5, v5, s0, v1
	ds_add_u32 v5, v2 offset:2048
	v_lshrrev_b32_e32 v5, 21, v15
	v_and_or_b32 v5, v5, s0, v1
	ds_add_u32 v5, v2 offset:2560
	v_lshrrev_b32_e32 v5, 26, v15
	v_and_b32_e32 v5, 48, v5
	v_xor_b32_e32 v5, 32, v5
	v_or_b32_e32 v5, v5, v1
	ds_add_u32 v5, v2 offset:3072
	v_lshlrev_b32_e32 v5, 4, v14
	v_and_or_b32 v5, v5, s0, v1
	;; [unrolled: 23-line block ×10, first 2 shown]
	ds_add_u32 v5, v2
	v_lshrrev_b32_e32 v5, 1, v4
	v_and_or_b32 v5, v5, s0, v1
	ds_add_u32 v5, v2 offset:512
	v_lshrrev_b32_e32 v5, 6, v4
	v_and_or_b32 v5, v5, s0, v1
	ds_add_u32 v5, v2 offset:1024
	v_lshrrev_b32_e32 v5, 11, v4
	v_and_or_b32 v5, v5, s0, v1
	ds_add_u32 v5, v2 offset:1536
	v_lshrrev_b32_e32 v5, 16, v4
	v_and_or_b32 v5, v5, s0, v1
	ds_add_u32 v5, v2 offset:2048
	v_lshrrev_b32_e32 v5, 21, v4
	v_lshrrev_b32_e32 v4, 26, v4
	v_and_b32_e32 v4, 48, v4
	v_and_or_b32 v5, v5, s0, v1
	v_xor_b32_e32 v4, 32, v4
	ds_add_u32 v5, v2 offset:2560
	v_or_b32_e32 v4, v4, v1
	ds_add_u32 v4, v2 offset:3072
	v_lshlrev_b32_e32 v4, 4, v3
	v_and_or_b32 v4, v4, s0, v1
	ds_add_u32 v4, v2
	v_lshrrev_b32_e32 v4, 1, v3
	v_and_or_b32 v4, v4, s0, v1
	ds_add_u32 v4, v2 offset:512
	v_lshrrev_b32_e32 v4, 6, v3
	v_and_or_b32 v4, v4, s0, v1
	ds_add_u32 v4, v2 offset:1024
	;; [unrolled: 3-line block ×4, first 2 shown]
	v_lshrrev_b32_e32 v4, 21, v3
	v_lshrrev_b32_e32 v3, 26, v3
	v_and_b32_e32 v3, 48, v3
	v_and_or_b32 v4, v4, s0, v1
	v_xor_b32_e32 v3, 32, v3
	ds_add_u32 v4, v2 offset:2560
	v_or_b32_e32 v1, v3, v1
	ds_add_u32 v1, v2 offset:3072
	v_cmp_gt_u32_e32 vcc, 32, v0
	s_waitcnt lgkmcnt(0)
	s_barrier
	s_and_saveexec_b64 s[0:1], vcc
	s_cbranch_execz .LBB23_125
; %bb.124:
	v_lshlrev_b32_e32 v6, 4, v0
	ds_read2_b32 v[1:2], v6 offset1:1
	ds_read2_b32 v[3:4], v6 offset0:2 offset1:3
	v_lshlrev_b32_e32 v7, 3, v0
	v_mov_b32_e32 v5, 0
	v_add_u32_e32 v8, 0x400, v6
	s_waitcnt lgkmcnt(1)
	v_add_u32_e32 v0, v2, v1
	s_waitcnt lgkmcnt(0)
	v_add3_u32 v4, v0, v3, v4
	global_atomic_add_x2 v7, v[4:5], s[26:27]
	ds_read2_b32 v[0:1], v6 offset0:128 offset1:129
	ds_read2_b32 v[2:3], v6 offset0:130 offset1:131
	v_add_u32_e32 v9, 0x408, v6
	s_waitcnt lgkmcnt(1)
	v_add_u32_e32 v0, v1, v0
	s_waitcnt lgkmcnt(0)
	v_add3_u32 v4, v0, v2, v3
	global_atomic_add_x2 v7, v[4:5], s[26:27] offset:256
	ds_read2_b32 v[0:1], v8 offset1:1
	ds_read2_b32 v[2:3], v9 offset1:1
	v_add_u32_e32 v8, 0x600, v6
	v_add_u32_e32 v9, 0x608, v6
	s_waitcnt lgkmcnt(1)
	v_add_u32_e32 v0, v1, v0
	s_waitcnt lgkmcnt(0)
	v_add3_u32 v4, v0, v2, v3
	global_atomic_add_x2 v7, v[4:5], s[26:27] offset:512
	ds_read2_b32 v[0:1], v8 offset1:1
	ds_read2_b32 v[2:3], v9 offset1:1
	v_add_u32_e32 v8, 0x800, v6
	;; [unrolled: 9-line block ×4, first 2 shown]
	s_waitcnt lgkmcnt(1)
	v_add_u32_e32 v0, v1, v0
	s_waitcnt lgkmcnt(0)
	v_add3_u32 v4, v0, v2, v3
	global_atomic_add_x2 v7, v[4:5], s[26:27] offset:1280
	v_add_u32_e32 v2, 0xc08, v6
	ds_read2_b32 v[0:1], v8 offset1:1
	ds_read2_b32 v[2:3], v2 offset1:1
	s_waitcnt lgkmcnt(1)
	v_add_u32_e32 v0, v1, v0
	s_waitcnt lgkmcnt(0)
	v_add3_u32 v4, v0, v2, v3
	global_atomic_add_x2 v7, v[4:5], s[26:27] offset:1536
.LBB23_125:
	s_endpgm
	.section	.rodata,"a",@progbits
	.p2align	6, 0x0
	.amdhsa_kernel _ZN7rocprim17ROCPRIM_304000_NS6detail26onesweep_histograms_kernelINS1_34wrapped_radix_sort_onesweep_configINS0_14default_configEiN2at4cuda3cub6detail10OpaqueTypeILi4EEEEELb0EPKimNS0_19identity_decomposerEEEvT1_PT2_SG_SG_T3_jj
		.amdhsa_group_segment_fixed_size 3584
		.amdhsa_private_segment_fixed_size 0
		.amdhsa_kernarg_size 44
		.amdhsa_user_sgpr_count 6
		.amdhsa_user_sgpr_private_segment_buffer 1
		.amdhsa_user_sgpr_dispatch_ptr 0
		.amdhsa_user_sgpr_queue_ptr 0
		.amdhsa_user_sgpr_kernarg_segment_ptr 1
		.amdhsa_user_sgpr_dispatch_id 0
		.amdhsa_user_sgpr_flat_scratch_init 0
		.amdhsa_user_sgpr_private_segment_size 0
		.amdhsa_uses_dynamic_stack 0
		.amdhsa_system_sgpr_private_segment_wavefront_offset 0
		.amdhsa_system_sgpr_workgroup_id_x 1
		.amdhsa_system_sgpr_workgroup_id_y 0
		.amdhsa_system_sgpr_workgroup_id_z 0
		.amdhsa_system_sgpr_workgroup_info 0
		.amdhsa_system_vgpr_workitem_id 0
		.amdhsa_next_free_vgpr 25
		.amdhsa_next_free_sgpr 37
		.amdhsa_reserve_vcc 1
		.amdhsa_reserve_flat_scratch 0
		.amdhsa_float_round_mode_32 0
		.amdhsa_float_round_mode_16_64 0
		.amdhsa_float_denorm_mode_32 3
		.amdhsa_float_denorm_mode_16_64 3
		.amdhsa_dx10_clamp 1
		.amdhsa_ieee_mode 1
		.amdhsa_fp16_overflow 0
		.amdhsa_exception_fp_ieee_invalid_op 0
		.amdhsa_exception_fp_denorm_src 0
		.amdhsa_exception_fp_ieee_div_zero 0
		.amdhsa_exception_fp_ieee_overflow 0
		.amdhsa_exception_fp_ieee_underflow 0
		.amdhsa_exception_fp_ieee_inexact 0
		.amdhsa_exception_int_div_zero 0
	.end_amdhsa_kernel
	.section	.text._ZN7rocprim17ROCPRIM_304000_NS6detail26onesweep_histograms_kernelINS1_34wrapped_radix_sort_onesweep_configINS0_14default_configEiN2at4cuda3cub6detail10OpaqueTypeILi4EEEEELb0EPKimNS0_19identity_decomposerEEEvT1_PT2_SG_SG_T3_jj,"axG",@progbits,_ZN7rocprim17ROCPRIM_304000_NS6detail26onesweep_histograms_kernelINS1_34wrapped_radix_sort_onesweep_configINS0_14default_configEiN2at4cuda3cub6detail10OpaqueTypeILi4EEEEELb0EPKimNS0_19identity_decomposerEEEvT1_PT2_SG_SG_T3_jj,comdat
.Lfunc_end23:
	.size	_ZN7rocprim17ROCPRIM_304000_NS6detail26onesweep_histograms_kernelINS1_34wrapped_radix_sort_onesweep_configINS0_14default_configEiN2at4cuda3cub6detail10OpaqueTypeILi4EEEEELb0EPKimNS0_19identity_decomposerEEEvT1_PT2_SG_SG_T3_jj, .Lfunc_end23-_ZN7rocprim17ROCPRIM_304000_NS6detail26onesweep_histograms_kernelINS1_34wrapped_radix_sort_onesweep_configINS0_14default_configEiN2at4cuda3cub6detail10OpaqueTypeILi4EEEEELb0EPKimNS0_19identity_decomposerEEEvT1_PT2_SG_SG_T3_jj
                                        ; -- End function
	.set _ZN7rocprim17ROCPRIM_304000_NS6detail26onesweep_histograms_kernelINS1_34wrapped_radix_sort_onesweep_configINS0_14default_configEiN2at4cuda3cub6detail10OpaqueTypeILi4EEEEELb0EPKimNS0_19identity_decomposerEEEvT1_PT2_SG_SG_T3_jj.num_vgpr, 25
	.set _ZN7rocprim17ROCPRIM_304000_NS6detail26onesweep_histograms_kernelINS1_34wrapped_radix_sort_onesweep_configINS0_14default_configEiN2at4cuda3cub6detail10OpaqueTypeILi4EEEEELb0EPKimNS0_19identity_decomposerEEEvT1_PT2_SG_SG_T3_jj.num_agpr, 0
	.set _ZN7rocprim17ROCPRIM_304000_NS6detail26onesweep_histograms_kernelINS1_34wrapped_radix_sort_onesweep_configINS0_14default_configEiN2at4cuda3cub6detail10OpaqueTypeILi4EEEEELb0EPKimNS0_19identity_decomposerEEEvT1_PT2_SG_SG_T3_jj.numbered_sgpr, 37
	.set _ZN7rocprim17ROCPRIM_304000_NS6detail26onesweep_histograms_kernelINS1_34wrapped_radix_sort_onesweep_configINS0_14default_configEiN2at4cuda3cub6detail10OpaqueTypeILi4EEEEELb0EPKimNS0_19identity_decomposerEEEvT1_PT2_SG_SG_T3_jj.num_named_barrier, 0
	.set _ZN7rocprim17ROCPRIM_304000_NS6detail26onesweep_histograms_kernelINS1_34wrapped_radix_sort_onesweep_configINS0_14default_configEiN2at4cuda3cub6detail10OpaqueTypeILi4EEEEELb0EPKimNS0_19identity_decomposerEEEvT1_PT2_SG_SG_T3_jj.private_seg_size, 0
	.set _ZN7rocprim17ROCPRIM_304000_NS6detail26onesweep_histograms_kernelINS1_34wrapped_radix_sort_onesweep_configINS0_14default_configEiN2at4cuda3cub6detail10OpaqueTypeILi4EEEEELb0EPKimNS0_19identity_decomposerEEEvT1_PT2_SG_SG_T3_jj.uses_vcc, 1
	.set _ZN7rocprim17ROCPRIM_304000_NS6detail26onesweep_histograms_kernelINS1_34wrapped_radix_sort_onesweep_configINS0_14default_configEiN2at4cuda3cub6detail10OpaqueTypeILi4EEEEELb0EPKimNS0_19identity_decomposerEEEvT1_PT2_SG_SG_T3_jj.uses_flat_scratch, 0
	.set _ZN7rocprim17ROCPRIM_304000_NS6detail26onesweep_histograms_kernelINS1_34wrapped_radix_sort_onesweep_configINS0_14default_configEiN2at4cuda3cub6detail10OpaqueTypeILi4EEEEELb0EPKimNS0_19identity_decomposerEEEvT1_PT2_SG_SG_T3_jj.has_dyn_sized_stack, 0
	.set _ZN7rocprim17ROCPRIM_304000_NS6detail26onesweep_histograms_kernelINS1_34wrapped_radix_sort_onesweep_configINS0_14default_configEiN2at4cuda3cub6detail10OpaqueTypeILi4EEEEELb0EPKimNS0_19identity_decomposerEEEvT1_PT2_SG_SG_T3_jj.has_recursion, 0
	.set _ZN7rocprim17ROCPRIM_304000_NS6detail26onesweep_histograms_kernelINS1_34wrapped_radix_sort_onesweep_configINS0_14default_configEiN2at4cuda3cub6detail10OpaqueTypeILi4EEEEELb0EPKimNS0_19identity_decomposerEEEvT1_PT2_SG_SG_T3_jj.has_indirect_call, 0
	.section	.AMDGPU.csdata,"",@progbits
; Kernel info:
; codeLenInByte = 5840
; TotalNumSgprs: 41
; NumVgprs: 25
; ScratchSize: 0
; MemoryBound: 0
; FloatMode: 240
; IeeeMode: 1
; LDSByteSize: 3584 bytes/workgroup (compile time only)
; SGPRBlocks: 5
; VGPRBlocks: 6
; NumSGPRsForWavesPerEU: 41
; NumVGPRsForWavesPerEU: 25
; Occupancy: 9
; WaveLimiterHint : 1
; COMPUTE_PGM_RSRC2:SCRATCH_EN: 0
; COMPUTE_PGM_RSRC2:USER_SGPR: 6
; COMPUTE_PGM_RSRC2:TRAP_HANDLER: 0
; COMPUTE_PGM_RSRC2:TGID_X_EN: 1
; COMPUTE_PGM_RSRC2:TGID_Y_EN: 0
; COMPUTE_PGM_RSRC2:TGID_Z_EN: 0
; COMPUTE_PGM_RSRC2:TIDIG_COMP_CNT: 0
	.section	.text._ZN7rocprim17ROCPRIM_304000_NS6detail25onesweep_iteration_kernelINS1_34wrapped_radix_sort_onesweep_configINS0_14default_configEiN2at4cuda3cub6detail10OpaqueTypeILi4EEEEELb0EPKiPiPKSA_PSA_mNS0_19identity_decomposerEEEvT1_T2_T3_T4_jPT5_SO_PNS1_23onesweep_lookback_stateET6_jjj,"axG",@progbits,_ZN7rocprim17ROCPRIM_304000_NS6detail25onesweep_iteration_kernelINS1_34wrapped_radix_sort_onesweep_configINS0_14default_configEiN2at4cuda3cub6detail10OpaqueTypeILi4EEEEELb0EPKiPiPKSA_PSA_mNS0_19identity_decomposerEEEvT1_T2_T3_T4_jPT5_SO_PNS1_23onesweep_lookback_stateET6_jjj,comdat
	.protected	_ZN7rocprim17ROCPRIM_304000_NS6detail25onesweep_iteration_kernelINS1_34wrapped_radix_sort_onesweep_configINS0_14default_configEiN2at4cuda3cub6detail10OpaqueTypeILi4EEEEELb0EPKiPiPKSA_PSA_mNS0_19identity_decomposerEEEvT1_T2_T3_T4_jPT5_SO_PNS1_23onesweep_lookback_stateET6_jjj ; -- Begin function _ZN7rocprim17ROCPRIM_304000_NS6detail25onesweep_iteration_kernelINS1_34wrapped_radix_sort_onesweep_configINS0_14default_configEiN2at4cuda3cub6detail10OpaqueTypeILi4EEEEELb0EPKiPiPKSA_PSA_mNS0_19identity_decomposerEEEvT1_T2_T3_T4_jPT5_SO_PNS1_23onesweep_lookback_stateET6_jjj
	.globl	_ZN7rocprim17ROCPRIM_304000_NS6detail25onesweep_iteration_kernelINS1_34wrapped_radix_sort_onesweep_configINS0_14default_configEiN2at4cuda3cub6detail10OpaqueTypeILi4EEEEELb0EPKiPiPKSA_PSA_mNS0_19identity_decomposerEEEvT1_T2_T3_T4_jPT5_SO_PNS1_23onesweep_lookback_stateET6_jjj
	.p2align	8
	.type	_ZN7rocprim17ROCPRIM_304000_NS6detail25onesweep_iteration_kernelINS1_34wrapped_radix_sort_onesweep_configINS0_14default_configEiN2at4cuda3cub6detail10OpaqueTypeILi4EEEEELb0EPKiPiPKSA_PSA_mNS0_19identity_decomposerEEEvT1_T2_T3_T4_jPT5_SO_PNS1_23onesweep_lookback_stateET6_jjj,@function
_ZN7rocprim17ROCPRIM_304000_NS6detail25onesweep_iteration_kernelINS1_34wrapped_radix_sort_onesweep_configINS0_14default_configEiN2at4cuda3cub6detail10OpaqueTypeILi4EEEEELb0EPKiPiPKSA_PSA_mNS0_19identity_decomposerEEEvT1_T2_T3_T4_jPT5_SO_PNS1_23onesweep_lookback_stateET6_jjj: ; @_ZN7rocprim17ROCPRIM_304000_NS6detail25onesweep_iteration_kernelINS1_34wrapped_radix_sort_onesweep_configINS0_14default_configEiN2at4cuda3cub6detail10OpaqueTypeILi4EEEEELb0EPKiPiPKSA_PSA_mNS0_19identity_decomposerEEEvT1_T2_T3_T4_jPT5_SO_PNS1_23onesweep_lookback_stateET6_jjj
; %bb.0:
	s_load_dwordx4 s[68:71], s[4:5], 0x44
	s_load_dwordx8 s[56:63], s[4:5], 0x0
	s_load_dwordx4 s[64:67], s[4:5], 0x28
	s_load_dwordx2 s[72:73], s[4:5], 0x38
	s_mov_b64 s[0:1], -1
	s_waitcnt lgkmcnt(0)
	s_cmp_ge_u32 s6, s70
	s_mul_i32 s74, s6, 0x1800
	v_mbcnt_lo_u32_b32 v11, -1, 0
	s_cbranch_scc0 .LBB24_168
; %bb.1:
	s_load_dword s0, s[4:5], 0x20
	s_mul_i32 s1, s70, 0xffffe800
	s_mov_b32 s75, 0
	s_lshl_b64 s[70:71], s[74:75], 2
	v_mbcnt_hi_u32_b32 v6, -1, v11
	s_waitcnt lgkmcnt(0)
	s_add_i32 s75, s1, s0
	s_add_u32 s0, s56, s70
	s_addc_u32 s1, s57, s71
	v_and_b32_e32 v23, 0x1c0, v0
	v_lshlrev_b32_e32 v13, 2, v6
	v_mul_u32_u24_e32 v5, 12, v23
	v_mov_b32_e32 v3, s1
	v_add_co_u32_e32 v4, vcc, s0, v13
	v_addc_co_u32_e32 v8, vcc, 0, v3, vcc
	v_lshlrev_b32_e32 v14, 2, v5
	v_add_co_u32_e32 v3, vcc, v4, v14
	v_addc_co_u32_e32 v4, vcc, 0, v8, vcc
	v_or_b32_e32 v5, v6, v5
	v_mov_b32_e32 v7, -1
	v_cmp_gt_u32_e32 vcc, s75, v5
	v_mov_b32_e32 v8, -1
	s_and_saveexec_b64 s[0:1], vcc
	s_cbranch_execz .LBB24_3
; %bb.2:
	global_load_dword v8, v[3:4], off
	s_waitcnt vmcnt(0)
	v_xor_b32_e32 v8, 0x80000000, v8
.LBB24_3:
	s_or_b64 exec, exec, s[0:1]
	v_add_u32_e32 v9, 64, v5
	v_cmp_gt_u32_e64 s[0:1], s75, v9
	s_and_saveexec_b64 s[2:3], s[0:1]
	s_cbranch_execz .LBB24_5
; %bb.4:
	global_load_dword v7, v[3:4], off offset:256
	s_waitcnt vmcnt(0)
	v_xor_b32_e32 v7, 0x80000000, v7
.LBB24_5:
	s_or_b64 exec, exec, s[2:3]
	v_add_u32_e32 v9, 0x80, v5
	v_cmp_gt_u32_e64 s[2:3], s75, v9
	v_mov_b32_e32 v9, -1
	v_mov_b32_e32 v10, -1
	s_and_saveexec_b64 s[8:9], s[2:3]
	s_cbranch_execz .LBB24_7
; %bb.6:
	global_load_dword v10, v[3:4], off offset:512
	s_waitcnt vmcnt(0)
	v_xor_b32_e32 v10, 0x80000000, v10
.LBB24_7:
	s_or_b64 exec, exec, s[8:9]
	v_add_u32_e32 v12, 0xc0, v5
	v_cmp_gt_u32_e64 s[52:53], s75, v12
	s_and_saveexec_b64 s[8:9], s[52:53]
	s_cbranch_execz .LBB24_9
; %bb.8:
	global_load_dword v9, v[3:4], off offset:768
	s_waitcnt vmcnt(0)
	v_xor_b32_e32 v9, 0x80000000, v9
.LBB24_9:
	s_or_b64 exec, exec, s[8:9]
	v_add_u32_e32 v12, 0x100, v5
	v_cmp_gt_u32_e64 s[8:9], s75, v12
	v_mov_b32_e32 v15, -1
	v_mov_b32_e32 v16, -1
	s_and_saveexec_b64 s[10:11], s[8:9]
	s_cbranch_execz .LBB24_11
; %bb.10:
	global_load_dword v12, v[3:4], off offset:1024
	s_waitcnt vmcnt(0)
	v_xor_b32_e32 v16, 0x80000000, v12
.LBB24_11:
	;; [unrolled: 22-line block ×5, first 2 shown]
	s_or_b64 exec, exec, s[22:23]
	v_add_u32_e32 v5, 0x2c0, v5
	v_cmp_gt_u32_e64 s[22:23], s75, v5
	s_and_saveexec_b64 s[24:25], s[22:23]
	s_cbranch_execz .LBB24_25
; %bb.24:
	global_load_dword v3, v[3:4], off offset:2816
	s_waitcnt vmcnt(0)
	v_xor_b32_e32 v21, 0x80000000, v3
.LBB24_25:
	s_or_b64 exec, exec, s[24:25]
	s_load_dword s24, s[4:5], 0x5c
	s_load_dword s7, s[4:5], 0x50
	s_add_u32 s25, s4, 0x50
	s_addc_u32 s26, s5, 0
	v_mov_b32_e32 v3, 0
	s_waitcnt lgkmcnt(0)
	s_lshr_b32 s27, s24, 16
	s_cmp_lt_u32 s6, s7
	s_cselect_b32 s24, 12, 18
	s_add_u32 s24, s25, s24
	s_addc_u32 s25, s26, 0
	global_load_ushort v24, v3, s[24:25]
	s_lshl_b32 s24, -1, s69
	v_lshrrev_b32_e32 v4, s68, v8
	s_not_b32 s33, s24
	v_and_b32_e32 v5, s33, v4
	v_and_b32_e32 v26, 1, v5
	v_add_co_u32_e64 v28, s[24:25], -1, v26
	v_lshlrev_b32_e32 v4, 30, v5
	v_addc_co_u32_e64 v29, s[24:25], 0, -1, s[24:25]
	v_mad_u32_u24 v25, v2, s27, v1
	v_cmp_ne_u32_e64 s[24:25], 0, v26
	v_cmp_gt_i64_e64 s[26:27], 0, v[3:4]
	v_not_b32_e32 v26, v4
	v_lshlrev_b32_e32 v4, 29, v5
	v_xor_b32_e32 v29, s25, v29
	v_xor_b32_e32 v28, s24, v28
	v_ashrrev_i32_e32 v26, 31, v26
	v_cmp_gt_i64_e64 s[24:25], 0, v[3:4]
	v_not_b32_e32 v30, v4
	v_lshlrev_b32_e32 v4, 28, v5
	v_and_b32_e32 v29, exec_hi, v29
	v_and_b32_e32 v28, exec_lo, v28
	v_xor_b32_e32 v31, s27, v26
	v_xor_b32_e32 v26, s26, v26
	v_ashrrev_i32_e32 v30, 31, v30
	v_cmp_gt_i64_e64 s[26:27], 0, v[3:4]
	v_not_b32_e32 v32, v4
	v_lshlrev_b32_e32 v4, 27, v5
	v_mul_lo_u32 v27, v5, 36
	v_and_b32_e32 v5, v29, v31
	v_and_b32_e32 v26, v28, v26
	v_xor_b32_e32 v28, s25, v30
	v_xor_b32_e32 v29, s24, v30
	v_ashrrev_i32_e32 v30, 31, v32
	v_cmp_gt_i64_e64 s[24:25], 0, v[3:4]
	v_not_b32_e32 v4, v4
	v_and_b32_e32 v5, v5, v28
	v_and_b32_e32 v26, v26, v29
	v_xor_b32_e32 v28, s27, v30
	v_xor_b32_e32 v29, s26, v30
	v_ashrrev_i32_e32 v4, 31, v4
	v_and_b32_e32 v5, v5, v28
	v_and_b32_e32 v26, v26, v29
	v_xor_b32_e32 v28, s25, v4
	v_xor_b32_e32 v4, s24, v4
	v_and_b32_e32 v4, v26, v4
	v_and_b32_e32 v5, v5, v28
	v_mbcnt_lo_u32_b32 v28, v4, 0
	v_lshlrev_b32_e32 v12, 2, v0
	ds_write_b32 v12, v3 offset:32
	s_waitcnt vmcnt(0) lgkmcnt(0)
	s_barrier
	; wave barrier
	v_mad_u64_u32 v[25:26], s[24:25], v25, v24, v[0:1]
	v_cmp_ne_u64_e64 s[24:25], 0, v[4:5]
	v_mbcnt_hi_u32_b32 v24, v5, v28
	v_cmp_eq_u32_e64 s[26:27], 0, v24
	v_lshrrev_b32_e32 v33, 6, v25
	v_lshl_add_u32 v26, v33, 2, v27
	s_and_b64 s[26:27], s[24:25], s[26:27]
	s_and_saveexec_b64 s[24:25], s[26:27]
; %bb.26:
	v_bcnt_u32_b32 v4, v4, 0
	v_bcnt_u32_b32 v4, v5, v4
	ds_write_b32 v26, v4 offset:32
; %bb.27:
	s_or_b64 exec, exec, s[24:25]
	v_lshrrev_b32_e32 v4, s68, v7
	v_and_b32_e32 v5, s33, v4
	v_mul_lo_u32 v4, v5, 36
	v_and_b32_e32 v27, 1, v5
	; wave barrier
	v_lshl_add_u32 v28, v33, 2, v4
	v_add_co_u32_e64 v4, s[24:25], -1, v27
	v_addc_co_u32_e64 v29, s[24:25], 0, -1, s[24:25]
	v_cmp_ne_u32_e64 s[24:25], 0, v27
	v_xor_b32_e32 v4, s24, v4
	v_xor_b32_e32 v27, s25, v29
	v_and_b32_e32 v29, exec_lo, v4
	v_lshlrev_b32_e32 v4, 30, v5
	v_cmp_gt_i64_e64 s[24:25], 0, v[3:4]
	v_not_b32_e32 v4, v4
	v_ashrrev_i32_e32 v4, 31, v4
	v_xor_b32_e32 v30, s25, v4
	v_xor_b32_e32 v4, s24, v4
	v_and_b32_e32 v29, v29, v4
	v_lshlrev_b32_e32 v4, 29, v5
	v_cmp_gt_i64_e64 s[24:25], 0, v[3:4]
	v_not_b32_e32 v4, v4
	v_and_b32_e32 v27, exec_hi, v27
	v_ashrrev_i32_e32 v4, 31, v4
	v_and_b32_e32 v27, v27, v30
	v_xor_b32_e32 v30, s25, v4
	v_xor_b32_e32 v4, s24, v4
	v_and_b32_e32 v29, v29, v4
	v_lshlrev_b32_e32 v4, 28, v5
	v_cmp_gt_i64_e64 s[24:25], 0, v[3:4]
	v_not_b32_e32 v4, v4
	v_ashrrev_i32_e32 v4, 31, v4
	v_and_b32_e32 v27, v27, v30
	v_xor_b32_e32 v30, s25, v4
	v_xor_b32_e32 v4, s24, v4
	v_and_b32_e32 v29, v29, v4
	v_lshlrev_b32_e32 v4, 27, v5
	v_cmp_gt_i64_e64 s[24:25], 0, v[3:4]
	v_not_b32_e32 v3, v4
	v_ashrrev_i32_e32 v3, 31, v3
	v_xor_b32_e32 v4, s25, v3
	v_xor_b32_e32 v3, s24, v3
	ds_read_b32 v25, v28 offset:32
	v_and_b32_e32 v27, v27, v30
	v_and_b32_e32 v3, v29, v3
	;; [unrolled: 1-line block ×3, first 2 shown]
	v_mbcnt_lo_u32_b32 v5, v3, 0
	v_mbcnt_hi_u32_b32 v27, v4, v5
	v_cmp_ne_u64_e64 s[24:25], 0, v[3:4]
	v_cmp_eq_u32_e64 s[26:27], 0, v27
	s_and_b64 s[26:27], s[24:25], s[26:27]
	; wave barrier
	s_and_saveexec_b64 s[24:25], s[26:27]
	s_cbranch_execz .LBB24_29
; %bb.28:
	v_bcnt_u32_b32 v3, v3, 0
	v_bcnt_u32_b32 v3, v4, v3
	s_waitcnt lgkmcnt(0)
	v_add_u32_e32 v3, v25, v3
	ds_write_b32 v28, v3 offset:32
.LBB24_29:
	s_or_b64 exec, exec, s[24:25]
	v_lshrrev_b32_e32 v3, s68, v10
	v_and_b32_e32 v5, s33, v3
	v_and_b32_e32 v4, 1, v5
	v_mul_lo_u32 v3, v5, 36
	v_add_co_u32_e64 v30, s[24:25], -1, v4
	v_addc_co_u32_e64 v32, s[24:25], 0, -1, s[24:25]
	v_cmp_ne_u32_e64 s[24:25], 0, v4
	v_xor_b32_e32 v4, s25, v32
	v_lshl_add_u32 v31, v33, 2, v3
	v_mov_b32_e32 v3, 0
	v_and_b32_e32 v32, exec_hi, v4
	v_lshlrev_b32_e32 v4, 30, v5
	v_xor_b32_e32 v30, s24, v30
	v_cmp_gt_i64_e64 s[24:25], 0, v[3:4]
	v_not_b32_e32 v4, v4
	v_ashrrev_i32_e32 v4, 31, v4
	v_and_b32_e32 v30, exec_lo, v30
	v_xor_b32_e32 v34, s25, v4
	v_xor_b32_e32 v4, s24, v4
	v_and_b32_e32 v30, v30, v4
	v_lshlrev_b32_e32 v4, 29, v5
	v_cmp_gt_i64_e64 s[24:25], 0, v[3:4]
	v_not_b32_e32 v4, v4
	v_ashrrev_i32_e32 v4, 31, v4
	v_and_b32_e32 v32, v32, v34
	v_xor_b32_e32 v34, s25, v4
	v_xor_b32_e32 v4, s24, v4
	v_and_b32_e32 v30, v30, v4
	v_lshlrev_b32_e32 v4, 28, v5
	v_cmp_gt_i64_e64 s[24:25], 0, v[3:4]
	v_not_b32_e32 v4, v4
	v_ashrrev_i32_e32 v4, 31, v4
	v_and_b32_e32 v32, v32, v34
	v_xor_b32_e32 v34, s25, v4
	v_xor_b32_e32 v4, s24, v4
	v_and_b32_e32 v30, v30, v4
	v_lshlrev_b32_e32 v4, 27, v5
	v_cmp_gt_i64_e64 s[24:25], 0, v[3:4]
	v_not_b32_e32 v4, v4
	v_ashrrev_i32_e32 v4, 31, v4
	v_xor_b32_e32 v5, s25, v4
	v_xor_b32_e32 v4, s24, v4
	; wave barrier
	ds_read_b32 v29, v31 offset:32
	v_and_b32_e32 v32, v32, v34
	v_and_b32_e32 v4, v30, v4
	v_and_b32_e32 v5, v32, v5
	v_mbcnt_lo_u32_b32 v30, v4, 0
	v_mbcnt_hi_u32_b32 v30, v5, v30
	v_cmp_ne_u64_e64 s[24:25], 0, v[4:5]
	v_cmp_eq_u32_e64 s[26:27], 0, v30
	s_and_b64 s[26:27], s[24:25], s[26:27]
	; wave barrier
	s_and_saveexec_b64 s[24:25], s[26:27]
	s_cbranch_execz .LBB24_31
; %bb.30:
	v_bcnt_u32_b32 v4, v4, 0
	v_bcnt_u32_b32 v4, v5, v4
	s_waitcnt lgkmcnt(0)
	v_add_u32_e32 v4, v29, v4
	ds_write_b32 v31, v4 offset:32
.LBB24_31:
	s_or_b64 exec, exec, s[24:25]
	v_lshrrev_b32_e32 v4, s68, v9
	v_and_b32_e32 v5, s33, v4
	v_mul_lo_u32 v4, v5, 36
	v_and_b32_e32 v34, 1, v5
	; wave barrier
	v_lshl_add_u32 v35, v33, 2, v4
	v_add_co_u32_e64 v4, s[24:25], -1, v34
	v_addc_co_u32_e64 v36, s[24:25], 0, -1, s[24:25]
	v_cmp_ne_u32_e64 s[24:25], 0, v34
	v_xor_b32_e32 v4, s24, v4
	v_xor_b32_e32 v34, s25, v36
	v_and_b32_e32 v36, exec_lo, v4
	v_lshlrev_b32_e32 v4, 30, v5
	v_cmp_gt_i64_e64 s[24:25], 0, v[3:4]
	v_not_b32_e32 v4, v4
	v_ashrrev_i32_e32 v4, 31, v4
	v_xor_b32_e32 v37, s25, v4
	v_xor_b32_e32 v4, s24, v4
	v_and_b32_e32 v36, v36, v4
	v_lshlrev_b32_e32 v4, 29, v5
	v_cmp_gt_i64_e64 s[24:25], 0, v[3:4]
	v_not_b32_e32 v4, v4
	v_and_b32_e32 v34, exec_hi, v34
	v_ashrrev_i32_e32 v4, 31, v4
	v_and_b32_e32 v34, v34, v37
	v_xor_b32_e32 v37, s25, v4
	v_xor_b32_e32 v4, s24, v4
	v_and_b32_e32 v36, v36, v4
	v_lshlrev_b32_e32 v4, 28, v5
	v_cmp_gt_i64_e64 s[24:25], 0, v[3:4]
	v_not_b32_e32 v4, v4
	v_ashrrev_i32_e32 v4, 31, v4
	v_and_b32_e32 v34, v34, v37
	v_xor_b32_e32 v37, s25, v4
	v_xor_b32_e32 v4, s24, v4
	v_and_b32_e32 v36, v36, v4
	v_lshlrev_b32_e32 v4, 27, v5
	v_cmp_gt_i64_e64 s[24:25], 0, v[3:4]
	v_not_b32_e32 v3, v4
	v_ashrrev_i32_e32 v3, 31, v3
	v_xor_b32_e32 v4, s25, v3
	v_xor_b32_e32 v3, s24, v3
	ds_read_b32 v32, v35 offset:32
	v_and_b32_e32 v34, v34, v37
	v_and_b32_e32 v3, v36, v3
	;; [unrolled: 1-line block ×3, first 2 shown]
	v_mbcnt_lo_u32_b32 v5, v3, 0
	v_mbcnt_hi_u32_b32 v34, v4, v5
	v_cmp_ne_u64_e64 s[24:25], 0, v[3:4]
	v_cmp_eq_u32_e64 s[26:27], 0, v34
	s_and_b64 s[26:27], s[24:25], s[26:27]
	; wave barrier
	s_and_saveexec_b64 s[24:25], s[26:27]
	s_cbranch_execz .LBB24_33
; %bb.32:
	v_bcnt_u32_b32 v3, v3, 0
	v_bcnt_u32_b32 v3, v4, v3
	s_waitcnt lgkmcnt(0)
	v_add_u32_e32 v3, v32, v3
	ds_write_b32 v35, v3 offset:32
.LBB24_33:
	s_or_b64 exec, exec, s[24:25]
	v_lshrrev_b32_e32 v3, s68, v16
	v_and_b32_e32 v5, s33, v3
	v_and_b32_e32 v4, 1, v5
	v_mul_lo_u32 v3, v5, 36
	v_add_co_u32_e64 v37, s[24:25], -1, v4
	v_addc_co_u32_e64 v39, s[24:25], 0, -1, s[24:25]
	v_cmp_ne_u32_e64 s[24:25], 0, v4
	v_xor_b32_e32 v4, s25, v39
	v_lshl_add_u32 v38, v33, 2, v3
	v_mov_b32_e32 v3, 0
	v_and_b32_e32 v39, exec_hi, v4
	v_lshlrev_b32_e32 v4, 30, v5
	v_xor_b32_e32 v37, s24, v37
	v_cmp_gt_i64_e64 s[24:25], 0, v[3:4]
	v_not_b32_e32 v4, v4
	v_ashrrev_i32_e32 v4, 31, v4
	v_and_b32_e32 v37, exec_lo, v37
	v_xor_b32_e32 v40, s25, v4
	v_xor_b32_e32 v4, s24, v4
	v_and_b32_e32 v37, v37, v4
	v_lshlrev_b32_e32 v4, 29, v5
	v_cmp_gt_i64_e64 s[24:25], 0, v[3:4]
	v_not_b32_e32 v4, v4
	v_ashrrev_i32_e32 v4, 31, v4
	v_and_b32_e32 v39, v39, v40
	v_xor_b32_e32 v40, s25, v4
	v_xor_b32_e32 v4, s24, v4
	v_and_b32_e32 v37, v37, v4
	v_lshlrev_b32_e32 v4, 28, v5
	v_cmp_gt_i64_e64 s[24:25], 0, v[3:4]
	v_not_b32_e32 v4, v4
	v_ashrrev_i32_e32 v4, 31, v4
	v_and_b32_e32 v39, v39, v40
	v_xor_b32_e32 v40, s25, v4
	v_xor_b32_e32 v4, s24, v4
	v_and_b32_e32 v37, v37, v4
	v_lshlrev_b32_e32 v4, 27, v5
	v_cmp_gt_i64_e64 s[24:25], 0, v[3:4]
	v_not_b32_e32 v4, v4
	v_ashrrev_i32_e32 v4, 31, v4
	v_xor_b32_e32 v5, s25, v4
	v_xor_b32_e32 v4, s24, v4
	; wave barrier
	ds_read_b32 v36, v38 offset:32
	v_and_b32_e32 v39, v39, v40
	v_and_b32_e32 v4, v37, v4
	;; [unrolled: 1-line block ×3, first 2 shown]
	v_mbcnt_lo_u32_b32 v37, v4, 0
	v_mbcnt_hi_u32_b32 v37, v5, v37
	v_cmp_ne_u64_e64 s[24:25], 0, v[4:5]
	v_cmp_eq_u32_e64 s[26:27], 0, v37
	s_and_b64 s[26:27], s[24:25], s[26:27]
	; wave barrier
	s_and_saveexec_b64 s[24:25], s[26:27]
	s_cbranch_execz .LBB24_35
; %bb.34:
	v_bcnt_u32_b32 v4, v4, 0
	v_bcnt_u32_b32 v4, v5, v4
	s_waitcnt lgkmcnt(0)
	v_add_u32_e32 v4, v36, v4
	ds_write_b32 v38, v4 offset:32
.LBB24_35:
	s_or_b64 exec, exec, s[24:25]
	v_lshrrev_b32_e32 v4, s68, v15
	v_and_b32_e32 v5, s33, v4
	v_mul_lo_u32 v4, v5, 36
	v_and_b32_e32 v40, 1, v5
	; wave barrier
	v_lshl_add_u32 v42, v33, 2, v4
	v_add_co_u32_e64 v4, s[24:25], -1, v40
	v_addc_co_u32_e64 v41, s[24:25], 0, -1, s[24:25]
	v_cmp_ne_u32_e64 s[24:25], 0, v40
	v_xor_b32_e32 v4, s24, v4
	v_xor_b32_e32 v40, s25, v41
	v_and_b32_e32 v41, exec_lo, v4
	v_lshlrev_b32_e32 v4, 30, v5
	v_cmp_gt_i64_e64 s[24:25], 0, v[3:4]
	v_not_b32_e32 v4, v4
	v_ashrrev_i32_e32 v4, 31, v4
	v_xor_b32_e32 v43, s25, v4
	v_xor_b32_e32 v4, s24, v4
	v_and_b32_e32 v41, v41, v4
	v_lshlrev_b32_e32 v4, 29, v5
	v_cmp_gt_i64_e64 s[24:25], 0, v[3:4]
	v_not_b32_e32 v4, v4
	v_and_b32_e32 v40, exec_hi, v40
	v_ashrrev_i32_e32 v4, 31, v4
	v_and_b32_e32 v40, v40, v43
	v_xor_b32_e32 v43, s25, v4
	v_xor_b32_e32 v4, s24, v4
	v_and_b32_e32 v41, v41, v4
	v_lshlrev_b32_e32 v4, 28, v5
	v_cmp_gt_i64_e64 s[24:25], 0, v[3:4]
	v_not_b32_e32 v4, v4
	v_ashrrev_i32_e32 v4, 31, v4
	v_and_b32_e32 v40, v40, v43
	v_xor_b32_e32 v43, s25, v4
	v_xor_b32_e32 v4, s24, v4
	v_and_b32_e32 v41, v41, v4
	v_lshlrev_b32_e32 v4, 27, v5
	v_cmp_gt_i64_e64 s[24:25], 0, v[3:4]
	v_not_b32_e32 v3, v4
	v_ashrrev_i32_e32 v3, 31, v3
	v_xor_b32_e32 v4, s25, v3
	v_xor_b32_e32 v3, s24, v3
	ds_read_b32 v39, v42 offset:32
	v_and_b32_e32 v40, v40, v43
	v_and_b32_e32 v3, v41, v3
	;; [unrolled: 1-line block ×3, first 2 shown]
	v_mbcnt_lo_u32_b32 v5, v3, 0
	v_mbcnt_hi_u32_b32 v40, v4, v5
	v_cmp_ne_u64_e64 s[24:25], 0, v[3:4]
	v_cmp_eq_u32_e64 s[26:27], 0, v40
	s_and_b64 s[26:27], s[24:25], s[26:27]
	; wave barrier
	s_and_saveexec_b64 s[24:25], s[26:27]
	s_cbranch_execz .LBB24_37
; %bb.36:
	v_bcnt_u32_b32 v3, v3, 0
	v_bcnt_u32_b32 v3, v4, v3
	s_waitcnt lgkmcnt(0)
	v_add_u32_e32 v3, v39, v3
	ds_write_b32 v42, v3 offset:32
.LBB24_37:
	s_or_b64 exec, exec, s[24:25]
	v_lshrrev_b32_e32 v3, s68, v18
	v_and_b32_e32 v5, s33, v3
	v_and_b32_e32 v4, 1, v5
	v_mul_lo_u32 v3, v5, 36
	v_add_co_u32_e64 v43, s[24:25], -1, v4
	v_addc_co_u32_e64 v44, s[24:25], 0, -1, s[24:25]
	v_cmp_ne_u32_e64 s[24:25], 0, v4
	v_xor_b32_e32 v4, s25, v44
	v_lshl_add_u32 v45, v33, 2, v3
	v_mov_b32_e32 v3, 0
	v_and_b32_e32 v44, exec_hi, v4
	v_lshlrev_b32_e32 v4, 30, v5
	v_xor_b32_e32 v43, s24, v43
	v_cmp_gt_i64_e64 s[24:25], 0, v[3:4]
	v_not_b32_e32 v4, v4
	v_ashrrev_i32_e32 v4, 31, v4
	v_and_b32_e32 v43, exec_lo, v43
	v_xor_b32_e32 v46, s25, v4
	v_xor_b32_e32 v4, s24, v4
	v_and_b32_e32 v43, v43, v4
	v_lshlrev_b32_e32 v4, 29, v5
	v_cmp_gt_i64_e64 s[24:25], 0, v[3:4]
	v_not_b32_e32 v4, v4
	v_ashrrev_i32_e32 v4, 31, v4
	v_and_b32_e32 v44, v44, v46
	v_xor_b32_e32 v46, s25, v4
	v_xor_b32_e32 v4, s24, v4
	v_and_b32_e32 v43, v43, v4
	v_lshlrev_b32_e32 v4, 28, v5
	v_cmp_gt_i64_e64 s[24:25], 0, v[3:4]
	v_not_b32_e32 v4, v4
	v_ashrrev_i32_e32 v4, 31, v4
	v_and_b32_e32 v44, v44, v46
	v_xor_b32_e32 v46, s25, v4
	v_xor_b32_e32 v4, s24, v4
	v_and_b32_e32 v43, v43, v4
	v_lshlrev_b32_e32 v4, 27, v5
	v_cmp_gt_i64_e64 s[24:25], 0, v[3:4]
	v_not_b32_e32 v4, v4
	v_ashrrev_i32_e32 v4, 31, v4
	v_xor_b32_e32 v5, s25, v4
	v_xor_b32_e32 v4, s24, v4
	; wave barrier
	ds_read_b32 v41, v45 offset:32
	v_and_b32_e32 v44, v44, v46
	v_and_b32_e32 v4, v43, v4
	;; [unrolled: 1-line block ×3, first 2 shown]
	v_mbcnt_lo_u32_b32 v43, v4, 0
	v_mbcnt_hi_u32_b32 v43, v5, v43
	v_cmp_ne_u64_e64 s[24:25], 0, v[4:5]
	v_cmp_eq_u32_e64 s[26:27], 0, v43
	s_and_b64 s[26:27], s[24:25], s[26:27]
	; wave barrier
	s_and_saveexec_b64 s[24:25], s[26:27]
	s_cbranch_execz .LBB24_39
; %bb.38:
	v_bcnt_u32_b32 v4, v4, 0
	v_bcnt_u32_b32 v4, v5, v4
	s_waitcnt lgkmcnt(0)
	v_add_u32_e32 v4, v41, v4
	ds_write_b32 v45, v4 offset:32
.LBB24_39:
	s_or_b64 exec, exec, s[24:25]
	v_lshrrev_b32_e32 v4, s68, v17
	v_and_b32_e32 v5, s33, v4
	v_mul_lo_u32 v4, v5, 36
	v_and_b32_e32 v46, 1, v5
	; wave barrier
	v_lshl_add_u32 v48, v33, 2, v4
	v_add_co_u32_e64 v4, s[24:25], -1, v46
	v_addc_co_u32_e64 v47, s[24:25], 0, -1, s[24:25]
	v_cmp_ne_u32_e64 s[24:25], 0, v46
	v_xor_b32_e32 v4, s24, v4
	v_xor_b32_e32 v46, s25, v47
	v_and_b32_e32 v47, exec_lo, v4
	v_lshlrev_b32_e32 v4, 30, v5
	v_cmp_gt_i64_e64 s[24:25], 0, v[3:4]
	v_not_b32_e32 v4, v4
	v_ashrrev_i32_e32 v4, 31, v4
	v_xor_b32_e32 v49, s25, v4
	v_xor_b32_e32 v4, s24, v4
	v_and_b32_e32 v47, v47, v4
	v_lshlrev_b32_e32 v4, 29, v5
	v_cmp_gt_i64_e64 s[24:25], 0, v[3:4]
	v_not_b32_e32 v4, v4
	v_and_b32_e32 v46, exec_hi, v46
	v_ashrrev_i32_e32 v4, 31, v4
	v_and_b32_e32 v46, v46, v49
	v_xor_b32_e32 v49, s25, v4
	v_xor_b32_e32 v4, s24, v4
	v_and_b32_e32 v47, v47, v4
	v_lshlrev_b32_e32 v4, 28, v5
	v_cmp_gt_i64_e64 s[24:25], 0, v[3:4]
	v_not_b32_e32 v4, v4
	v_ashrrev_i32_e32 v4, 31, v4
	v_and_b32_e32 v46, v46, v49
	v_xor_b32_e32 v49, s25, v4
	v_xor_b32_e32 v4, s24, v4
	v_and_b32_e32 v47, v47, v4
	v_lshlrev_b32_e32 v4, 27, v5
	v_cmp_gt_i64_e64 s[24:25], 0, v[3:4]
	v_not_b32_e32 v3, v4
	v_ashrrev_i32_e32 v3, 31, v3
	v_xor_b32_e32 v4, s25, v3
	v_xor_b32_e32 v3, s24, v3
	ds_read_b32 v44, v48 offset:32
	v_and_b32_e32 v46, v46, v49
	v_and_b32_e32 v3, v47, v3
	v_and_b32_e32 v4, v46, v4
	v_mbcnt_lo_u32_b32 v5, v3, 0
	v_mbcnt_hi_u32_b32 v46, v4, v5
	v_cmp_ne_u64_e64 s[24:25], 0, v[3:4]
	v_cmp_eq_u32_e64 s[26:27], 0, v46
	s_and_b64 s[26:27], s[24:25], s[26:27]
	; wave barrier
	s_and_saveexec_b64 s[24:25], s[26:27]
	s_cbranch_execz .LBB24_41
; %bb.40:
	v_bcnt_u32_b32 v3, v3, 0
	v_bcnt_u32_b32 v3, v4, v3
	s_waitcnt lgkmcnt(0)
	v_add_u32_e32 v3, v44, v3
	ds_write_b32 v48, v3 offset:32
.LBB24_41:
	s_or_b64 exec, exec, s[24:25]
	v_lshrrev_b32_e32 v3, s68, v20
	v_and_b32_e32 v5, s33, v3
	v_and_b32_e32 v4, 1, v5
	v_mul_lo_u32 v3, v5, 36
	v_add_co_u32_e64 v49, s[24:25], -1, v4
	v_addc_co_u32_e64 v50, s[24:25], 0, -1, s[24:25]
	v_cmp_ne_u32_e64 s[24:25], 0, v4
	v_xor_b32_e32 v4, s25, v50
	v_lshl_add_u32 v51, v33, 2, v3
	v_mov_b32_e32 v3, 0
	v_and_b32_e32 v50, exec_hi, v4
	v_lshlrev_b32_e32 v4, 30, v5
	v_xor_b32_e32 v49, s24, v49
	v_cmp_gt_i64_e64 s[24:25], 0, v[3:4]
	v_not_b32_e32 v4, v4
	v_ashrrev_i32_e32 v4, 31, v4
	v_and_b32_e32 v49, exec_lo, v49
	v_xor_b32_e32 v52, s25, v4
	v_xor_b32_e32 v4, s24, v4
	v_and_b32_e32 v49, v49, v4
	v_lshlrev_b32_e32 v4, 29, v5
	v_cmp_gt_i64_e64 s[24:25], 0, v[3:4]
	v_not_b32_e32 v4, v4
	v_ashrrev_i32_e32 v4, 31, v4
	v_and_b32_e32 v50, v50, v52
	v_xor_b32_e32 v52, s25, v4
	v_xor_b32_e32 v4, s24, v4
	v_and_b32_e32 v49, v49, v4
	v_lshlrev_b32_e32 v4, 28, v5
	v_cmp_gt_i64_e64 s[24:25], 0, v[3:4]
	v_not_b32_e32 v4, v4
	v_ashrrev_i32_e32 v4, 31, v4
	v_and_b32_e32 v50, v50, v52
	v_xor_b32_e32 v52, s25, v4
	v_xor_b32_e32 v4, s24, v4
	v_and_b32_e32 v49, v49, v4
	v_lshlrev_b32_e32 v4, 27, v5
	v_cmp_gt_i64_e64 s[24:25], 0, v[3:4]
	v_not_b32_e32 v4, v4
	v_ashrrev_i32_e32 v4, 31, v4
	v_xor_b32_e32 v5, s25, v4
	v_xor_b32_e32 v4, s24, v4
	; wave barrier
	ds_read_b32 v47, v51 offset:32
	v_and_b32_e32 v50, v50, v52
	v_and_b32_e32 v4, v49, v4
	;; [unrolled: 1-line block ×3, first 2 shown]
	v_mbcnt_lo_u32_b32 v49, v4, 0
	v_mbcnt_hi_u32_b32 v49, v5, v49
	v_cmp_ne_u64_e64 s[24:25], 0, v[4:5]
	v_cmp_eq_u32_e64 s[26:27], 0, v49
	s_and_b64 s[26:27], s[24:25], s[26:27]
	; wave barrier
	s_and_saveexec_b64 s[24:25], s[26:27]
	s_cbranch_execz .LBB24_43
; %bb.42:
	v_bcnt_u32_b32 v4, v4, 0
	v_bcnt_u32_b32 v4, v5, v4
	s_waitcnt lgkmcnt(0)
	v_add_u32_e32 v4, v47, v4
	ds_write_b32 v51, v4 offset:32
.LBB24_43:
	s_or_b64 exec, exec, s[24:25]
	v_lshrrev_b32_e32 v4, s68, v19
	v_and_b32_e32 v5, s33, v4
	v_mul_lo_u32 v4, v5, 36
	v_and_b32_e32 v52, 1, v5
	; wave barrier
	v_lshl_add_u32 v54, v33, 2, v4
	v_add_co_u32_e64 v4, s[24:25], -1, v52
	v_addc_co_u32_e64 v53, s[24:25], 0, -1, s[24:25]
	v_cmp_ne_u32_e64 s[24:25], 0, v52
	v_xor_b32_e32 v4, s24, v4
	v_xor_b32_e32 v52, s25, v53
	v_and_b32_e32 v53, exec_lo, v4
	v_lshlrev_b32_e32 v4, 30, v5
	v_cmp_gt_i64_e64 s[24:25], 0, v[3:4]
	v_not_b32_e32 v4, v4
	v_ashrrev_i32_e32 v4, 31, v4
	v_xor_b32_e32 v55, s25, v4
	v_xor_b32_e32 v4, s24, v4
	v_and_b32_e32 v53, v53, v4
	v_lshlrev_b32_e32 v4, 29, v5
	v_cmp_gt_i64_e64 s[24:25], 0, v[3:4]
	v_not_b32_e32 v4, v4
	v_and_b32_e32 v52, exec_hi, v52
	v_ashrrev_i32_e32 v4, 31, v4
	v_and_b32_e32 v52, v52, v55
	v_xor_b32_e32 v55, s25, v4
	v_xor_b32_e32 v4, s24, v4
	v_and_b32_e32 v53, v53, v4
	v_lshlrev_b32_e32 v4, 28, v5
	v_cmp_gt_i64_e64 s[24:25], 0, v[3:4]
	v_not_b32_e32 v4, v4
	v_ashrrev_i32_e32 v4, 31, v4
	v_and_b32_e32 v52, v52, v55
	v_xor_b32_e32 v55, s25, v4
	v_xor_b32_e32 v4, s24, v4
	v_and_b32_e32 v53, v53, v4
	v_lshlrev_b32_e32 v4, 27, v5
	v_cmp_gt_i64_e64 s[24:25], 0, v[3:4]
	v_not_b32_e32 v3, v4
	v_ashrrev_i32_e32 v3, 31, v3
	v_xor_b32_e32 v4, s25, v3
	v_xor_b32_e32 v3, s24, v3
	ds_read_b32 v50, v54 offset:32
	v_and_b32_e32 v52, v52, v55
	v_and_b32_e32 v3, v53, v3
	;; [unrolled: 1-line block ×3, first 2 shown]
	v_mbcnt_lo_u32_b32 v5, v3, 0
	v_mbcnt_hi_u32_b32 v52, v4, v5
	v_cmp_ne_u64_e64 s[24:25], 0, v[3:4]
	v_cmp_eq_u32_e64 s[26:27], 0, v52
	s_and_b64 s[26:27], s[24:25], s[26:27]
	; wave barrier
	s_and_saveexec_b64 s[24:25], s[26:27]
	s_cbranch_execz .LBB24_45
; %bb.44:
	v_bcnt_u32_b32 v3, v3, 0
	v_bcnt_u32_b32 v3, v4, v3
	s_waitcnt lgkmcnt(0)
	v_add_u32_e32 v3, v50, v3
	ds_write_b32 v54, v3 offset:32
.LBB24_45:
	s_or_b64 exec, exec, s[24:25]
	v_lshrrev_b32_e32 v3, s68, v22
	v_and_b32_e32 v5, s33, v3
	v_and_b32_e32 v4, 1, v5
	v_mul_lo_u32 v3, v5, 36
	v_add_co_u32_e64 v55, s[24:25], -1, v4
	v_addc_co_u32_e64 v57, s[24:25], 0, -1, s[24:25]
	v_cmp_ne_u32_e64 s[24:25], 0, v4
	v_xor_b32_e32 v4, s25, v57
	v_lshl_add_u32 v56, v33, 2, v3
	v_mov_b32_e32 v3, 0
	v_and_b32_e32 v57, exec_hi, v4
	v_lshlrev_b32_e32 v4, 30, v5
	v_xor_b32_e32 v55, s24, v55
	v_cmp_gt_i64_e64 s[24:25], 0, v[3:4]
	v_not_b32_e32 v4, v4
	v_ashrrev_i32_e32 v4, 31, v4
	v_and_b32_e32 v55, exec_lo, v55
	v_xor_b32_e32 v58, s25, v4
	v_xor_b32_e32 v4, s24, v4
	v_and_b32_e32 v55, v55, v4
	v_lshlrev_b32_e32 v4, 29, v5
	v_cmp_gt_i64_e64 s[24:25], 0, v[3:4]
	v_not_b32_e32 v4, v4
	v_ashrrev_i32_e32 v4, 31, v4
	v_and_b32_e32 v57, v57, v58
	v_xor_b32_e32 v58, s25, v4
	v_xor_b32_e32 v4, s24, v4
	v_and_b32_e32 v55, v55, v4
	v_lshlrev_b32_e32 v4, 28, v5
	v_cmp_gt_i64_e64 s[24:25], 0, v[3:4]
	v_not_b32_e32 v4, v4
	v_ashrrev_i32_e32 v4, 31, v4
	v_and_b32_e32 v57, v57, v58
	v_xor_b32_e32 v58, s25, v4
	v_xor_b32_e32 v4, s24, v4
	v_and_b32_e32 v55, v55, v4
	v_lshlrev_b32_e32 v4, 27, v5
	v_cmp_gt_i64_e64 s[24:25], 0, v[3:4]
	v_not_b32_e32 v4, v4
	v_ashrrev_i32_e32 v4, 31, v4
	v_xor_b32_e32 v5, s25, v4
	v_xor_b32_e32 v4, s24, v4
	; wave barrier
	ds_read_b32 v53, v56 offset:32
	v_and_b32_e32 v57, v57, v58
	v_and_b32_e32 v4, v55, v4
	;; [unrolled: 1-line block ×3, first 2 shown]
	v_mbcnt_lo_u32_b32 v55, v4, 0
	v_mbcnt_hi_u32_b32 v55, v5, v55
	v_cmp_ne_u64_e64 s[24:25], 0, v[4:5]
	v_cmp_eq_u32_e64 s[26:27], 0, v55
	s_and_b64 s[26:27], s[24:25], s[26:27]
	; wave barrier
	s_and_saveexec_b64 s[24:25], s[26:27]
	s_cbranch_execz .LBB24_47
; %bb.46:
	v_bcnt_u32_b32 v4, v4, 0
	v_bcnt_u32_b32 v4, v5, v4
	s_waitcnt lgkmcnt(0)
	v_add_u32_e32 v4, v53, v4
	ds_write_b32 v56, v4 offset:32
.LBB24_47:
	s_or_b64 exec, exec, s[24:25]
	v_lshrrev_b32_e32 v4, s68, v21
	v_and_b32_e32 v58, s33, v4
	v_mul_lo_u32 v4, v58, 36
	v_and_b32_e32 v59, 1, v58
	; wave barrier
	v_lshl_add_u32 v57, v33, 2, v4
	v_add_co_u32_e64 v4, s[24:25], -1, v59
	v_addc_co_u32_e64 v33, s[24:25], 0, -1, s[24:25]
	v_cmp_ne_u32_e64 s[24:25], 0, v59
	v_xor_b32_e32 v4, s24, v4
	v_and_b32_e32 v59, exec_lo, v4
	v_lshlrev_b32_e32 v4, 30, v58
	v_xor_b32_e32 v33, s25, v33
	v_cmp_gt_i64_e64 s[24:25], 0, v[3:4]
	v_not_b32_e32 v4, v4
	v_ashrrev_i32_e32 v4, 31, v4
	v_xor_b32_e32 v60, s25, v4
	v_xor_b32_e32 v4, s24, v4
	v_and_b32_e32 v59, v59, v4
	v_lshlrev_b32_e32 v4, 29, v58
	v_cmp_gt_i64_e64 s[24:25], 0, v[3:4]
	v_not_b32_e32 v4, v4
	v_and_b32_e32 v33, exec_hi, v33
	v_ashrrev_i32_e32 v4, 31, v4
	v_and_b32_e32 v33, v33, v60
	v_xor_b32_e32 v60, s25, v4
	v_xor_b32_e32 v4, s24, v4
	v_and_b32_e32 v59, v59, v4
	v_lshlrev_b32_e32 v4, 28, v58
	v_cmp_gt_i64_e64 s[24:25], 0, v[3:4]
	v_not_b32_e32 v4, v4
	v_ashrrev_i32_e32 v4, 31, v4
	v_and_b32_e32 v33, v33, v60
	v_xor_b32_e32 v60, s25, v4
	v_xor_b32_e32 v4, s24, v4
	v_and_b32_e32 v59, v59, v4
	v_lshlrev_b32_e32 v4, 27, v58
	v_cmp_gt_i64_e64 s[24:25], 0, v[3:4]
	v_not_b32_e32 v3, v4
	v_ashrrev_i32_e32 v3, 31, v3
	v_xor_b32_e32 v4, s25, v3
	v_xor_b32_e32 v3, s24, v3
	ds_read_b32 v5, v57 offset:32
	v_and_b32_e32 v33, v33, v60
	v_and_b32_e32 v3, v59, v3
	;; [unrolled: 1-line block ×3, first 2 shown]
	v_mbcnt_lo_u32_b32 v33, v3, 0
	v_mbcnt_hi_u32_b32 v33, v4, v33
	v_cmp_ne_u64_e64 s[24:25], 0, v[3:4]
	v_cmp_eq_u32_e64 s[26:27], 0, v33
	s_and_b64 s[26:27], s[24:25], s[26:27]
	; wave barrier
	s_and_saveexec_b64 s[24:25], s[26:27]
	s_cbranch_execz .LBB24_49
; %bb.48:
	v_bcnt_u32_b32 v3, v3, 0
	v_bcnt_u32_b32 v3, v4, v3
	s_waitcnt lgkmcnt(0)
	v_add_u32_e32 v3, v5, v3
	ds_write_b32 v57, v3 offset:32
.LBB24_49:
	s_or_b64 exec, exec, s[24:25]
	; wave barrier
	s_waitcnt lgkmcnt(0)
	s_barrier
	ds_read_b32 v3, v12 offset:32
	v_and_b32_e32 v4, 15, v6
	v_cmp_ne_u32_e64 s[24:25], 0, v4
	v_min_u32_e32 v23, 0x1c0, v23
	v_or_b32_e32 v23, 63, v23
	s_waitcnt lgkmcnt(0)
	v_mov_b32_dpp v58, v3 row_shr:1 row_mask:0xf bank_mask:0xf
	v_cndmask_b32_e64 v58, 0, v58, s[24:25]
	v_add_u32_e32 v3, v58, v3
	v_cmp_lt_u32_e64 s[24:25], 1, v4
	s_nop 0
	v_mov_b32_dpp v58, v3 row_shr:2 row_mask:0xf bank_mask:0xf
	v_cndmask_b32_e64 v58, 0, v58, s[24:25]
	v_add_u32_e32 v3, v3, v58
	v_cmp_lt_u32_e64 s[24:25], 3, v4
	s_nop 0
	;; [unrolled: 5-line block ×3, first 2 shown]
	v_mov_b32_dpp v58, v3 row_shr:8 row_mask:0xf bank_mask:0xf
	v_cndmask_b32_e64 v4, 0, v58, s[24:25]
	v_add_u32_e32 v3, v3, v4
	v_bfe_i32 v58, v6, 4, 1
	v_cmp_lt_u32_e64 s[24:25], 31, v6
	v_mov_b32_dpp v4, v3 row_bcast:15 row_mask:0xf bank_mask:0xf
	v_and_b32_e32 v4, v58, v4
	v_add_u32_e32 v3, v3, v4
	s_nop 1
	v_mov_b32_dpp v4, v3 row_bcast:31 row_mask:0xf bank_mask:0xf
	v_cndmask_b32_e64 v4, 0, v4, s[24:25]
	v_add_u32_e32 v3, v3, v4
	v_lshrrev_b32_e32 v4, 6, v0
	v_cmp_eq_u32_e64 s[24:25], v0, v23
	s_and_saveexec_b64 s[26:27], s[24:25]
; %bb.50:
	v_lshlrev_b32_e32 v23, 2, v4
	ds_write_b32 v23, v3
; %bb.51:
	s_or_b64 exec, exec, s[26:27]
	v_cmp_gt_u32_e64 s[24:25], 8, v0
	s_waitcnt lgkmcnt(0)
	s_barrier
	s_and_saveexec_b64 s[26:27], s[24:25]
	s_cbranch_execz .LBB24_53
; %bb.52:
	ds_read_b32 v23, v12
	v_and_b32_e32 v58, 7, v6
	v_cmp_ne_u32_e64 s[24:25], 0, v58
	s_waitcnt lgkmcnt(0)
	v_mov_b32_dpp v59, v23 row_shr:1 row_mask:0xf bank_mask:0xf
	v_cndmask_b32_e64 v59, 0, v59, s[24:25]
	v_add_u32_e32 v23, v59, v23
	v_cmp_lt_u32_e64 s[24:25], 1, v58
	s_nop 0
	v_mov_b32_dpp v59, v23 row_shr:2 row_mask:0xf bank_mask:0xf
	v_cndmask_b32_e64 v59, 0, v59, s[24:25]
	v_add_u32_e32 v23, v23, v59
	v_cmp_lt_u32_e64 s[24:25], 3, v58
	s_nop 0
	v_mov_b32_dpp v59, v23 row_shr:4 row_mask:0xf bank_mask:0xf
	v_cndmask_b32_e64 v58, 0, v59, s[24:25]
	v_add_u32_e32 v23, v23, v58
	ds_write_b32 v12, v23
.LBB24_53:
	s_or_b64 exec, exec, s[26:27]
	v_cmp_lt_u32_e64 s[24:25], 63, v0
	v_mov_b32_e32 v23, 0
	s_waitcnt lgkmcnt(0)
	s_barrier
	s_and_saveexec_b64 s[26:27], s[24:25]
; %bb.54:
	v_lshl_add_u32 v4, v4, 2, -4
	ds_read_b32 v23, v4
; %bb.55:
	s_or_b64 exec, exec, s[26:27]
	v_add_u32_e32 v4, -1, v6
	v_and_b32_e32 v58, 64, v6
	v_cmp_lt_i32_e64 s[24:25], v4, v58
	v_cndmask_b32_e64 v4, v4, v6, s[24:25]
	s_waitcnt lgkmcnt(0)
	v_add_u32_e32 v3, v23, v3
	v_lshlrev_b32_e32 v4, 2, v4
	ds_bpermute_b32 v3, v4, v3
	v_cmp_eq_u32_e64 s[24:25], 0, v6
	v_cmp_gt_u32_e64 s[26:27], 32, v0
	s_waitcnt lgkmcnt(0)
	v_cndmask_b32_e64 v3, v3, v23, s[24:25]
	ds_write_b32 v12, v3 offset:32
	s_waitcnt lgkmcnt(0)
	s_barrier
	ds_read_b32 v62, v26 offset:32
	ds_read_b32 v61, v28 offset:32
	;; [unrolled: 1-line block ×12, first 2 shown]
	v_mov_b32_e32 v3, 0
	v_cmp_lt_u32_e64 s[24:25], 31, v0
	v_mov_b32_e32 v4, 0
                                        ; implicit-def: $vgpr23
	s_and_saveexec_b64 s[30:31], s[26:27]
	s_cbranch_execz .LBB24_59
; %bb.56:
	v_mul_u32_u24_e32 v3, 36, v0
	ds_read_b32 v3, v3 offset:32
	v_add_u32_e32 v6, 1, v0
	v_cmp_ne_u32_e64 s[28:29], 32, v6
	v_mov_b32_e32 v4, 0x1800
	s_and_saveexec_b64 s[34:35], s[28:29]
; %bb.57:
	v_mul_u32_u24_e32 v4, 36, v6
	ds_read_b32 v4, v4 offset:32
; %bb.58:
	s_or_b64 exec, exec, s[34:35]
	s_waitcnt lgkmcnt(0)
	v_sub_u32_e32 v23, v4, v3
	v_mov_b32_e32 v4, 0
.LBB24_59:
	s_or_b64 exec, exec, s[30:31]
	v_lshlrev_b32_e32 v24, 2, v24
	s_waitcnt lgkmcnt(11)
	v_lshl_add_u32 v24, v62, 2, v24
	s_waitcnt lgkmcnt(0)
	s_barrier
	ds_write_b32 v24, v8 offset:256
	v_lshlrev_b32_e32 v8, 2, v61
	v_lshlrev_b32_e32 v27, 2, v27
	v_lshlrev_b32_e32 v25, 2, v25
	v_add3_u32 v25, v8, v27, v25
	ds_write_b32 v25, v7 offset:256
	v_lshlrev_b32_e32 v7, 2, v26
	v_lshlrev_b32_e32 v8, 2, v30
	v_lshlrev_b32_e32 v26, 2, v29
	v_add3_u32 v26, v7, v8, v26
	;; [unrolled: 5-line block ×4, first 2 shown]
	v_lshlrev_b32_e32 v7, 2, v59
	v_lshlrev_b32_e32 v8, 2, v40
	;; [unrolled: 1-line block ×3, first 2 shown]
	ds_write_b32 v28, v16 offset:256
	v_add3_u32 v16, v7, v8, v9
	v_lshlrev_b32_e32 v7, 2, v58
	v_lshlrev_b32_e32 v8, 2, v43
	;; [unrolled: 1-line block ×3, first 2 shown]
	v_add3_u32 v29, v7, v8, v9
	v_lshlrev_b32_e32 v7, 2, v45
	v_lshlrev_b32_e32 v8, 2, v46
	;; [unrolled: 1-line block ×3, first 2 shown]
	ds_write_b32 v16, v15 offset:256
	ds_write_b32 v29, v18 offset:256
	v_add3_u32 v18, v7, v8, v9
	v_lshlrev_b32_e32 v7, 2, v42
	v_lshlrev_b32_e32 v8, 2, v49
	v_lshlrev_b32_e32 v9, 2, v47
	ds_write_b32 v18, v17 offset:256
	v_add3_u32 v17, v7, v8, v9
	v_lshlrev_b32_e32 v7, 2, v38
	v_lshlrev_b32_e32 v8, 2, v52
	v_lshlrev_b32_e32 v9, 2, v50
	;; [unrolled: 5-line block ×4, first 2 shown]
	v_mov_b32_e32 v6, 0
	ds_write_b32 v19, v22 offset:256
	v_add3_u32 v22, v7, v8, v5
	v_lshlrev_b32_e32 v15, 3, v0
	ds_write_b32 v22, v21 offset:256
	s_waitcnt lgkmcnt(0)
	s_barrier
	s_and_saveexec_b64 s[28:29], s[26:27]
	s_cbranch_execz .LBB24_69
; %bb.60:
	v_lshl_add_u32 v5, s6, 5, v0
	v_lshlrev_b64 v[7:8], 2, v[5:6]
	v_mov_b32_e32 v21, s73
	v_add_co_u32_e64 v7, s[26:27], s72, v7
	v_addc_co_u32_e64 v8, s[26:27], v21, v8, s[26:27]
	v_or_b32_e32 v5, 2.0, v23
	s_mov_b64 s[30:31], 0
	s_brev_b32 s38, -4
	s_mov_b32 s39, s6
	v_mov_b32_e32 v30, 0
	global_store_dword v[7:8], v5, off
                                        ; implicit-def: $sgpr26_sgpr27
	s_branch .LBB24_63
.LBB24_61:                              ;   in Loop: Header=BB24_63 Depth=1
	s_or_b64 exec, exec, s[36:37]
.LBB24_62:                              ;   in Loop: Header=BB24_63 Depth=1
	s_or_b64 exec, exec, s[34:35]
	v_and_b32_e32 v9, 0x3fffffff, v5
	v_add_u32_e32 v30, v9, v30
	v_cmp_gt_i32_e64 s[26:27], -2.0, v5
	s_and_b64 s[34:35], exec, s[26:27]
	s_or_b64 s[30:31], s[34:35], s[30:31]
	s_andn2_b64 exec, exec, s[30:31]
	s_cbranch_execz .LBB24_68
.LBB24_63:                              ; =>This Loop Header: Depth=1
                                        ;     Child Loop BB24_66 Depth 2
	s_or_b64 s[26:27], s[26:27], exec
	s_cmp_eq_u32 s39, 0
	s_cbranch_scc1 .LBB24_67
; %bb.64:                               ;   in Loop: Header=BB24_63 Depth=1
	s_add_i32 s39, s39, -1
	v_lshl_or_b32 v5, s39, 5, v0
	v_lshlrev_b64 v[9:10], 2, v[5:6]
	v_add_co_u32_e64 v9, s[26:27], s72, v9
	v_addc_co_u32_e64 v10, s[26:27], v21, v10, s[26:27]
	global_load_dword v5, v[9:10], off glc
	s_waitcnt vmcnt(0)
	v_cmp_gt_u32_e64 s[26:27], 2.0, v5
	s_and_saveexec_b64 s[34:35], s[26:27]
	s_cbranch_execz .LBB24_62
; %bb.65:                               ;   in Loop: Header=BB24_63 Depth=1
	s_mov_b64 s[36:37], 0
.LBB24_66:                              ;   Parent Loop BB24_63 Depth=1
                                        ; =>  This Inner Loop Header: Depth=2
	global_load_dword v5, v[9:10], off glc
	s_waitcnt vmcnt(0)
	v_cmp_lt_u32_e64 s[26:27], s38, v5
	s_or_b64 s[36:37], s[26:27], s[36:37]
	s_andn2_b64 exec, exec, s[36:37]
	s_cbranch_execnz .LBB24_66
	s_branch .LBB24_61
.LBB24_67:                              ;   in Loop: Header=BB24_63 Depth=1
                                        ; implicit-def: $sgpr39
	s_and_b64 s[34:35], exec, s[26:27]
	s_or_b64 s[30:31], s[34:35], s[30:31]
	s_andn2_b64 exec, exec, s[30:31]
	s_cbranch_execnz .LBB24_63
.LBB24_68:
	s_or_b64 exec, exec, s[30:31]
	v_add_u32_e32 v5, v30, v23
	v_or_b32_e32 v5, 0x80000000, v5
	global_store_dword v[7:8], v5, off
	global_load_dwordx2 v[5:6], v15, s[64:65]
	v_sub_co_u32_e64 v7, s[26:27], v30, v3
	v_subb_co_u32_e64 v8, s[26:27], 0, v4, s[26:27]
	s_waitcnt vmcnt(0)
	v_add_co_u32_e64 v5, s[26:27], v7, v5
	v_addc_co_u32_e64 v6, s[26:27], v8, v6, s[26:27]
	ds_write_b64 v15, v[5:6]
.LBB24_69:
	s_or_b64 exec, exec, s[28:29]
	v_cmp_gt_u32_e64 s[26:27], s75, v0
	s_waitcnt lgkmcnt(0)
	s_barrier
	s_and_saveexec_b64 s[30:31], s[26:27]
	s_cbranch_execz .LBB24_71
; %bb.70:
	v_sub_u32_e32 v5, v15, v12
	ds_read_b32 v7, v5 offset:256
	v_mov_b32_e32 v8, s59
	s_waitcnt lgkmcnt(0)
	v_lshrrev_b32_e32 v5, s68, v7
	v_and_b32_e32 v5, s33, v5
	v_lshlrev_b32_e32 v5, 3, v5
	ds_read_b64 v[5:6], v5
	v_xor_b32_e32 v7, 0x80000000, v7
	s_waitcnt lgkmcnt(0)
	v_lshlrev_b64 v[5:6], 2, v[5:6]
	v_add_co_u32_e64 v5, s[28:29], s58, v5
	v_addc_co_u32_e64 v6, s[28:29], v8, v6, s[28:29]
	v_add_co_u32_e64 v5, s[28:29], v5, v12
	v_addc_co_u32_e64 v6, s[28:29], 0, v6, s[28:29]
	global_store_dword v[5:6], v7, off
.LBB24_71:
	s_or_b64 exec, exec, s[30:31]
	v_or_b32_e32 v5, 0x200, v0
	v_cmp_gt_u32_e64 s[28:29], s75, v5
	s_and_saveexec_b64 s[34:35], s[28:29]
	s_cbranch_execz .LBB24_73
; %bb.72:
	v_sub_u32_e32 v5, v15, v12
	ds_read_b32 v7, v5 offset:2304
	v_mov_b32_e32 v8, s59
	s_waitcnt lgkmcnt(0)
	v_lshrrev_b32_e32 v5, s68, v7
	v_and_b32_e32 v5, s33, v5
	v_lshlrev_b32_e32 v5, 3, v5
	ds_read_b64 v[5:6], v5
	v_xor_b32_e32 v7, 0x80000000, v7
	s_waitcnt lgkmcnt(0)
	v_lshlrev_b64 v[5:6], 2, v[5:6]
	v_add_co_u32_e64 v5, s[30:31], s58, v5
	v_addc_co_u32_e64 v6, s[30:31], v8, v6, s[30:31]
	v_add_co_u32_e64 v5, s[30:31], v5, v12
	v_addc_co_u32_e64 v6, s[30:31], 0, v6, s[30:31]
	global_store_dword v[5:6], v7, off offset:2048
.LBB24_73:
	s_or_b64 exec, exec, s[34:35]
	v_or_b32_e32 v5, 0x400, v0
	v_cmp_gt_u32_e64 s[30:31], s75, v5
	v_lshlrev_b32_e32 v7, 2, v5
	s_and_saveexec_b64 s[36:37], s[30:31]
	s_cbranch_execz .LBB24_75
; %bb.74:
	v_sub_u32_e32 v5, v15, v12
	ds_read_b32 v8, v5 offset:4352
	v_mov_b32_e32 v9, s59
	s_waitcnt lgkmcnt(0)
	v_lshrrev_b32_e32 v5, s68, v8
	v_and_b32_e32 v5, s33, v5
	v_lshlrev_b32_e32 v5, 3, v5
	ds_read_b64 v[5:6], v5
	v_xor_b32_e32 v8, 0x80000000, v8
	s_waitcnt lgkmcnt(0)
	v_lshlrev_b64 v[5:6], 2, v[5:6]
	v_add_co_u32_e64 v5, s[34:35], s58, v5
	v_addc_co_u32_e64 v6, s[34:35], v9, v6, s[34:35]
	v_add_co_u32_e64 v5, s[34:35], v5, v7
	v_addc_co_u32_e64 v6, s[34:35], 0, v6, s[34:35]
	global_store_dword v[5:6], v8, off
.LBB24_75:
	s_or_b64 exec, exec, s[36:37]
	v_or_b32_e32 v5, 0x600, v0
	v_cmp_gt_u32_e64 s[34:35], s75, v5
	v_lshlrev_b32_e32 v8, 2, v5
	s_and_saveexec_b64 s[38:39], s[34:35]
	s_cbranch_execz .LBB24_77
; %bb.76:
	v_sub_u32_e32 v5, v15, v12
	ds_read_b32 v9, v5 offset:6400
	v_mov_b32_e32 v10, s59
	s_waitcnt lgkmcnt(0)
	v_lshrrev_b32_e32 v5, s68, v9
	v_and_b32_e32 v5, s33, v5
	v_lshlrev_b32_e32 v5, 3, v5
	ds_read_b64 v[5:6], v5
	v_xor_b32_e32 v9, 0x80000000, v9
	s_waitcnt lgkmcnt(0)
	v_lshlrev_b64 v[5:6], 2, v[5:6]
	v_add_co_u32_e64 v5, s[36:37], s58, v5
	v_addc_co_u32_e64 v6, s[36:37], v10, v6, s[36:37]
	v_add_co_u32_e64 v5, s[36:37], v5, v8
	v_addc_co_u32_e64 v6, s[36:37], 0, v6, s[36:37]
	global_store_dword v[5:6], v9, off
.LBB24_77:
	;; [unrolled: 24-line block ×7, first 2 shown]
	s_or_b64 exec, exec, s[48:49]
	v_or_b32_e32 v5, 0x1200, v0
	v_cmp_gt_u32_e64 s[46:47], s75, v5
	v_lshlrev_b32_e32 v32, 2, v5
	s_and_saveexec_b64 s[50:51], s[46:47]
	s_cbranch_execz .LBB24_89
; %bb.88:
	ds_read_b32 v33, v12 offset:18688
	v_mov_b32_e32 v34, s59
	s_waitcnt lgkmcnt(0)
	v_lshrrev_b32_e32 v5, s68, v33
	v_and_b32_e32 v5, s33, v5
	v_lshlrev_b32_e32 v5, 3, v5
	ds_read_b64 v[5:6], v5
	v_xor_b32_e32 v33, 0x80000000, v33
	s_waitcnt lgkmcnt(0)
	v_lshlrev_b64 v[5:6], 2, v[5:6]
	v_add_co_u32_e64 v5, s[48:49], s58, v5
	v_addc_co_u32_e64 v6, s[48:49], v34, v6, s[48:49]
	v_add_co_u32_e64 v5, s[48:49], v5, v32
	v_addc_co_u32_e64 v6, s[48:49], 0, v6, s[48:49]
	global_store_dword v[5:6], v33, off
.LBB24_89:
	s_or_b64 exec, exec, s[50:51]
	v_or_b32_e32 v5, 0x1400, v0
	v_cmp_gt_u32_e64 s[48:49], s75, v5
	v_lshlrev_b32_e32 v33, 2, v5
	s_and_saveexec_b64 s[54:55], s[48:49]
	s_cbranch_execz .LBB24_91
; %bb.90:
	ds_read_b32 v34, v12 offset:20736
	v_mov_b32_e32 v35, s59
	s_waitcnt lgkmcnt(0)
	v_lshrrev_b32_e32 v5, s68, v34
	v_and_b32_e32 v5, s33, v5
	v_lshlrev_b32_e32 v5, 3, v5
	ds_read_b64 v[5:6], v5
	v_xor_b32_e32 v34, 0x80000000, v34
	s_waitcnt lgkmcnt(0)
	v_lshlrev_b64 v[5:6], 2, v[5:6]
	v_add_co_u32_e64 v5, s[50:51], s58, v5
	v_addc_co_u32_e64 v6, s[50:51], v35, v6, s[50:51]
	v_add_co_u32_e64 v5, s[50:51], v5, v33
	v_addc_co_u32_e64 v6, s[50:51], 0, v6, s[50:51]
	global_store_dword v[5:6], v34, off
.LBB24_91:
	;; [unrolled: 23-line block ×3, first 2 shown]
	s_or_b64 exec, exec, s[76:77]
	s_add_u32 s54, s60, s70
	s_addc_u32 s55, s61, s71
	v_mov_b32_e32 v5, s55
	v_add_co_u32_e64 v6, s[54:55], s54, v13
	v_addc_co_u32_e64 v13, s[54:55], 0, v5, s[54:55]
	v_add_co_u32_e64 v5, s[54:55], v6, v14
	v_addc_co_u32_e64 v6, s[54:55], 0, v13, s[54:55]
                                        ; implicit-def: $vgpr13
	s_and_saveexec_b64 s[54:55], vcc
	s_xor_b64 s[54:55], exec, s[54:55]
	s_cbranch_execz .LBB24_105
; %bb.94:
	global_load_dword v13, v[5:6], off
	s_or_b64 exec, exec, s[54:55]
                                        ; implicit-def: $vgpr14
	s_and_saveexec_b64 s[54:55], s[0:1]
	s_cbranch_execnz .LBB24_106
.LBB24_95:
	s_or_b64 exec, exec, s[54:55]
                                        ; implicit-def: $vgpr35
	s_and_saveexec_b64 s[0:1], s[2:3]
	s_cbranch_execz .LBB24_107
.LBB24_96:
	global_load_dword v35, v[5:6], off offset:512
	s_or_b64 exec, exec, s[0:1]
                                        ; implicit-def: $vgpr36
	s_and_saveexec_b64 s[0:1], s[52:53]
	s_cbranch_execnz .LBB24_108
.LBB24_97:
	s_or_b64 exec, exec, s[0:1]
                                        ; implicit-def: $vgpr38
	s_and_saveexec_b64 s[0:1], s[8:9]
	s_cbranch_execz .LBB24_109
.LBB24_98:
	global_load_dword v38, v[5:6], off offset:1024
	s_or_b64 exec, exec, s[0:1]
                                        ; implicit-def: $vgpr40
	s_and_saveexec_b64 s[0:1], s[10:11]
	s_cbranch_execnz .LBB24_110
.LBB24_99:
	s_or_b64 exec, exec, s[0:1]
                                        ; implicit-def: $vgpr42
	s_and_saveexec_b64 s[0:1], s[12:13]
	s_cbranch_execz .LBB24_111
.LBB24_100:
	global_load_dword v42, v[5:6], off offset:1536
	s_or_b64 exec, exec, s[0:1]
                                        ; implicit-def: $vgpr45
	s_and_saveexec_b64 s[0:1], s[14:15]
	s_cbranch_execnz .LBB24_112
.LBB24_101:
	s_or_b64 exec, exec, s[0:1]
                                        ; implicit-def: $vgpr47
	s_and_saveexec_b64 s[0:1], s[16:17]
	s_cbranch_execz .LBB24_113
.LBB24_102:
	global_load_dword v47, v[5:6], off offset:2048
	s_or_b64 exec, exec, s[0:1]
                                        ; implicit-def: $vgpr49
	s_and_saveexec_b64 s[0:1], s[18:19]
	s_cbranch_execnz .LBB24_114
.LBB24_103:
	s_or_b64 exec, exec, s[0:1]
                                        ; implicit-def: $vgpr52
	s_and_saveexec_b64 s[0:1], s[20:21]
	s_cbranch_execz .LBB24_115
.LBB24_104:
	global_load_dword v52, v[5:6], off offset:2560
	s_or_b64 exec, exec, s[0:1]
                                        ; implicit-def: $vgpr53
	s_and_saveexec_b64 s[0:1], s[22:23]
	s_cbranch_execnz .LBB24_116
	s_branch .LBB24_117
.LBB24_105:
	s_or_b64 exec, exec, s[54:55]
                                        ; implicit-def: $vgpr14
	s_and_saveexec_b64 s[54:55], s[0:1]
	s_cbranch_execz .LBB24_95
.LBB24_106:
	global_load_dword v14, v[5:6], off offset:256
	s_or_b64 exec, exec, s[54:55]
                                        ; implicit-def: $vgpr35
	s_and_saveexec_b64 s[0:1], s[2:3]
	s_cbranch_execnz .LBB24_96
.LBB24_107:
	s_or_b64 exec, exec, s[0:1]
                                        ; implicit-def: $vgpr36
	s_and_saveexec_b64 s[0:1], s[52:53]
	s_cbranch_execz .LBB24_97
.LBB24_108:
	global_load_dword v36, v[5:6], off offset:768
	s_or_b64 exec, exec, s[0:1]
                                        ; implicit-def: $vgpr38
	s_and_saveexec_b64 s[0:1], s[8:9]
	s_cbranch_execnz .LBB24_98
.LBB24_109:
	s_or_b64 exec, exec, s[0:1]
                                        ; implicit-def: $vgpr40
	s_and_saveexec_b64 s[0:1], s[10:11]
	s_cbranch_execz .LBB24_99
.LBB24_110:
	global_load_dword v40, v[5:6], off offset:1280
	s_or_b64 exec, exec, s[0:1]
                                        ; implicit-def: $vgpr42
	s_and_saveexec_b64 s[0:1], s[12:13]
	s_cbranch_execnz .LBB24_100
.LBB24_111:
	s_or_b64 exec, exec, s[0:1]
                                        ; implicit-def: $vgpr45
	s_and_saveexec_b64 s[0:1], s[14:15]
	s_cbranch_execz .LBB24_101
.LBB24_112:
	global_load_dword v45, v[5:6], off offset:1792
	s_or_b64 exec, exec, s[0:1]
                                        ; implicit-def: $vgpr47
	s_and_saveexec_b64 s[0:1], s[16:17]
	s_cbranch_execnz .LBB24_102
.LBB24_113:
	s_or_b64 exec, exec, s[0:1]
                                        ; implicit-def: $vgpr49
	s_and_saveexec_b64 s[0:1], s[18:19]
	s_cbranch_execz .LBB24_103
.LBB24_114:
	global_load_dword v49, v[5:6], off offset:2304
	s_or_b64 exec, exec, s[0:1]
                                        ; implicit-def: $vgpr52
	s_and_saveexec_b64 s[0:1], s[20:21]
	s_cbranch_execnz .LBB24_104
.LBB24_115:
	s_or_b64 exec, exec, s[0:1]
                                        ; implicit-def: $vgpr53
	s_and_saveexec_b64 s[0:1], s[22:23]
	s_cbranch_execz .LBB24_117
.LBB24_116:
	global_load_dword v53, v[5:6], off offset:2816
.LBB24_117:
	s_or_b64 exec, exec, s[0:1]
	v_mov_b32_e32 v50, 0
	v_mov_b32_e32 v54, 0
	s_and_saveexec_b64 s[0:1], s[26:27]
	s_cbranch_execz .LBB24_119
; %bb.118:
	ds_read_b32 v5, v12 offset:256
	s_waitcnt lgkmcnt(0)
	v_lshrrev_b32_e32 v5, s68, v5
	v_and_b32_e32 v54, s33, v5
.LBB24_119:
	s_or_b64 exec, exec, s[0:1]
	s_and_saveexec_b64 s[0:1], s[28:29]
	s_cbranch_execz .LBB24_121
; %bb.120:
	ds_read_b32 v5, v12 offset:2304
	s_waitcnt lgkmcnt(0)
	v_lshrrev_b32_e32 v5, s68, v5
	v_and_b32_e32 v50, s33, v5
.LBB24_121:
	s_or_b64 exec, exec, s[0:1]
	v_mov_b32_e32 v46, 0
	v_mov_b32_e32 v51, 0
	s_and_saveexec_b64 s[0:1], s[30:31]
	s_cbranch_execz .LBB24_123
; %bb.122:
	ds_read_b32 v5, v12 offset:4352
	s_waitcnt lgkmcnt(0)
	v_lshrrev_b32_e32 v5, s68, v5
	v_and_b32_e32 v51, s33, v5
.LBB24_123:
	s_or_b64 exec, exec, s[0:1]
	s_and_saveexec_b64 s[0:1], s[34:35]
	s_cbranch_execz .LBB24_125
; %bb.124:
	ds_read_b32 v5, v12 offset:6400
	s_waitcnt lgkmcnt(0)
	v_lshrrev_b32_e32 v5, s68, v5
	v_and_b32_e32 v46, s33, v5
.LBB24_125:
	;; [unrolled: 20-line block ×6, first 2 shown]
	s_or_b64 exec, exec, s[0:1]
	s_waitcnt vmcnt(0)
	s_barrier
	ds_write_b32 v24, v13 offset:256
	ds_write_b32 v25, v14 offset:256
	;; [unrolled: 1-line block ×12, first 2 shown]
	s_waitcnt lgkmcnt(0)
	s_barrier
	s_and_saveexec_b64 s[0:1], s[26:27]
	s_cbranch_execz .LBB24_153
; %bb.142:
	v_lshlrev_b32_e32 v13, 3, v54
	ds_read_b64 v[13:14], v13
	ds_read_b32 v16, v12 offset:256
	v_mov_b32_e32 v17, s63
	s_waitcnt lgkmcnt(1)
	v_lshlrev_b64 v[13:14], 2, v[13:14]
	v_add_co_u32_e32 v13, vcc, s62, v13
	v_addc_co_u32_e32 v14, vcc, v17, v14, vcc
	v_add_co_u32_e32 v13, vcc, v13, v12
	v_addc_co_u32_e32 v14, vcc, 0, v14, vcc
	s_waitcnt lgkmcnt(0)
	global_store_dword v[13:14], v16, off
	s_or_b64 exec, exec, s[0:1]
	s_and_saveexec_b64 s[0:1], s[28:29]
	s_cbranch_execnz .LBB24_154
.LBB24_143:
	s_or_b64 exec, exec, s[0:1]
	s_and_saveexec_b64 s[0:1], s[30:31]
	s_cbranch_execz .LBB24_155
.LBB24_144:
	v_lshlrev_b32_e32 v13, 3, v51
	ds_read_b64 v[13:14], v13
	ds_read_b32 v16, v12 offset:4352
	v_mov_b32_e32 v17, s63
	s_waitcnt lgkmcnt(1)
	v_lshlrev_b64 v[13:14], 2, v[13:14]
	v_add_co_u32_e32 v13, vcc, s62, v13
	v_addc_co_u32_e32 v14, vcc, v17, v14, vcc
	v_add_co_u32_e32 v13, vcc, v13, v7
	v_addc_co_u32_e32 v14, vcc, 0, v14, vcc
	s_waitcnt lgkmcnt(0)
	global_store_dword v[13:14], v16, off
	s_or_b64 exec, exec, s[0:1]
	s_and_saveexec_b64 s[0:1], s[34:35]
	s_cbranch_execnz .LBB24_156
.LBB24_145:
	s_or_b64 exec, exec, s[0:1]
	s_and_saveexec_b64 s[0:1], s[36:37]
	s_cbranch_execz .LBB24_157
.LBB24_146:
	v_lshlrev_b32_e32 v7, 3, v48
	ds_read_b64 v[7:8], v7
	ds_read_b32 v13, v12 offset:8448
	v_mov_b32_e32 v14, s63
	s_waitcnt lgkmcnt(1)
	v_lshlrev_b64 v[7:8], 2, v[7:8]
	v_add_co_u32_e32 v7, vcc, s62, v7
	v_addc_co_u32_e32 v8, vcc, v14, v8, vcc
	v_add_co_u32_e32 v7, vcc, v7, v9
	v_addc_co_u32_e32 v8, vcc, 0, v8, vcc
	s_waitcnt lgkmcnt(0)
	global_store_dword v[7:8], v13, off
	s_or_b64 exec, exec, s[0:1]
	s_and_saveexec_b64 s[0:1], s[38:39]
	s_cbranch_execnz .LBB24_158
.LBB24_147:
	s_or_b64 exec, exec, s[0:1]
	s_and_saveexec_b64 s[0:1], s[40:41]
	s_cbranch_execz .LBB24_159
.LBB24_148:
	v_lshlrev_b32_e32 v7, 3, v44
	ds_read_b64 v[7:8], v7
	ds_read_b32 v9, v12 offset:12544
	v_mov_b32_e32 v10, s63
	s_waitcnt lgkmcnt(1)
	v_lshlrev_b64 v[7:8], 2, v[7:8]
	v_add_co_u32_e32 v7, vcc, s62, v7
	v_addc_co_u32_e32 v8, vcc, v10, v8, vcc
	v_add_co_u32_e32 v7, vcc, v7, v21
	v_addc_co_u32_e32 v8, vcc, 0, v8, vcc
	s_waitcnt lgkmcnt(0)
	global_store_dword v[7:8], v9, off
	s_or_b64 exec, exec, s[0:1]
	s_and_saveexec_b64 s[0:1], s[42:43]
	s_cbranch_execnz .LBB24_160
.LBB24_149:
	s_or_b64 exec, exec, s[0:1]
	s_and_saveexec_b64 s[0:1], s[44:45]
	s_cbranch_execz .LBB24_161
.LBB24_150:
	v_lshlrev_b32_e32 v7, 3, v41
	ds_read_b64 v[7:8], v7
	ds_read_b32 v9, v12 offset:16640
	v_mov_b32_e32 v10, s63
	s_waitcnt lgkmcnt(1)
	v_lshlrev_b64 v[7:8], 2, v[7:8]
	v_add_co_u32_e32 v7, vcc, s62, v7
	v_addc_co_u32_e32 v8, vcc, v10, v8, vcc
	v_add_co_u32_e32 v7, vcc, v7, v31
	v_addc_co_u32_e32 v8, vcc, 0, v8, vcc
	s_waitcnt lgkmcnt(0)
	global_store_dword v[7:8], v9, off
	s_or_b64 exec, exec, s[0:1]
	s_and_saveexec_b64 s[0:1], s[46:47]
	s_cbranch_execnz .LBB24_162
.LBB24_151:
	s_or_b64 exec, exec, s[0:1]
	s_and_saveexec_b64 s[0:1], s[48:49]
	s_cbranch_execz .LBB24_163
.LBB24_152:
	v_lshlrev_b32_e32 v6, 3, v37
	ds_read_b64 v[6:7], v6
	ds_read_b32 v8, v12 offset:20736
	v_mov_b32_e32 v9, s63
	s_waitcnt lgkmcnt(1)
	v_lshlrev_b64 v[6:7], 2, v[6:7]
	v_add_co_u32_e32 v6, vcc, s62, v6
	v_addc_co_u32_e32 v7, vcc, v9, v7, vcc
	v_add_co_u32_e32 v6, vcc, v6, v33
	v_addc_co_u32_e32 v7, vcc, 0, v7, vcc
	s_waitcnt lgkmcnt(0)
	global_store_dword v[6:7], v8, off
	s_or_b64 exec, exec, s[0:1]
	s_and_saveexec_b64 s[0:1], s[50:51]
	s_cbranch_execnz .LBB24_164
	s_branch .LBB24_165
.LBB24_153:
	s_or_b64 exec, exec, s[0:1]
	s_and_saveexec_b64 s[0:1], s[28:29]
	s_cbranch_execz .LBB24_143
.LBB24_154:
	v_lshlrev_b32_e32 v13, 3, v50
	ds_read_b64 v[13:14], v13
	ds_read_b32 v16, v12 offset:2304
	v_mov_b32_e32 v17, s63
	s_waitcnt lgkmcnt(1)
	v_lshlrev_b64 v[13:14], 2, v[13:14]
	v_add_co_u32_e32 v13, vcc, s62, v13
	v_addc_co_u32_e32 v14, vcc, v17, v14, vcc
	v_add_co_u32_e32 v13, vcc, v13, v12
	v_addc_co_u32_e32 v14, vcc, 0, v14, vcc
	s_waitcnt lgkmcnt(0)
	global_store_dword v[13:14], v16, off offset:2048
	s_or_b64 exec, exec, s[0:1]
	s_and_saveexec_b64 s[0:1], s[30:31]
	s_cbranch_execnz .LBB24_144
.LBB24_155:
	s_or_b64 exec, exec, s[0:1]
	s_and_saveexec_b64 s[0:1], s[34:35]
	s_cbranch_execz .LBB24_145
.LBB24_156:
	v_lshlrev_b32_e32 v7, 3, v46
	ds_read_b64 v[13:14], v7
	ds_read_b32 v16, v12 offset:6400
	v_mov_b32_e32 v7, s63
	s_waitcnt lgkmcnt(1)
	v_lshlrev_b64 v[13:14], 2, v[13:14]
	v_add_co_u32_e32 v13, vcc, s62, v13
	v_addc_co_u32_e32 v14, vcc, v7, v14, vcc
	v_add_co_u32_e32 v7, vcc, v13, v8
	v_addc_co_u32_e32 v8, vcc, 0, v14, vcc
	s_waitcnt lgkmcnt(0)
	global_store_dword v[7:8], v16, off
	s_or_b64 exec, exec, s[0:1]
	s_and_saveexec_b64 s[0:1], s[36:37]
	s_cbranch_execnz .LBB24_146
.LBB24_157:
	s_or_b64 exec, exec, s[0:1]
	s_and_saveexec_b64 s[0:1], s[38:39]
	s_cbranch_execz .LBB24_147
.LBB24_158:
	v_lshlrev_b32_e32 v7, 3, v43
	ds_read_b64 v[7:8], v7
	ds_read_b32 v9, v12 offset:10496
	v_mov_b32_e32 v13, s63
	s_waitcnt lgkmcnt(1)
	v_lshlrev_b64 v[7:8], 2, v[7:8]
	v_add_co_u32_e32 v7, vcc, s62, v7
	v_addc_co_u32_e32 v8, vcc, v13, v8, vcc
	v_add_co_u32_e32 v7, vcc, v7, v10
	v_addc_co_u32_e32 v8, vcc, 0, v8, vcc
	s_waitcnt lgkmcnt(0)
	global_store_dword v[7:8], v9, off
	s_or_b64 exec, exec, s[0:1]
	s_and_saveexec_b64 s[0:1], s[40:41]
	s_cbranch_execnz .LBB24_148
.LBB24_159:
	s_or_b64 exec, exec, s[0:1]
	s_and_saveexec_b64 s[0:1], s[42:43]
	s_cbranch_execz .LBB24_149
.LBB24_160:
	v_lshlrev_b32_e32 v7, 3, v39
	ds_read_b64 v[7:8], v7
	ds_read_b32 v9, v12 offset:14592
	v_mov_b32_e32 v10, s63
	s_waitcnt lgkmcnt(1)
	v_lshlrev_b64 v[7:8], 2, v[7:8]
	v_add_co_u32_e32 v7, vcc, s62, v7
	v_addc_co_u32_e32 v8, vcc, v10, v8, vcc
	v_add_co_u32_e32 v7, vcc, v7, v30
	v_addc_co_u32_e32 v8, vcc, 0, v8, vcc
	s_waitcnt lgkmcnt(0)
	global_store_dword v[7:8], v9, off
	s_or_b64 exec, exec, s[0:1]
	s_and_saveexec_b64 s[0:1], s[44:45]
	s_cbranch_execnz .LBB24_150
.LBB24_161:
	s_or_b64 exec, exec, s[0:1]
	s_and_saveexec_b64 s[0:1], s[46:47]
	s_cbranch_execz .LBB24_151
.LBB24_162:
	v_lshlrev_b32_e32 v6, 3, v6
	ds_read_b64 v[6:7], v6
	ds_read_b32 v8, v12 offset:18688
	v_mov_b32_e32 v9, s63
	s_waitcnt lgkmcnt(1)
	v_lshlrev_b64 v[6:7], 2, v[6:7]
	v_add_co_u32_e32 v6, vcc, s62, v6
	v_addc_co_u32_e32 v7, vcc, v9, v7, vcc
	v_add_co_u32_e32 v6, vcc, v6, v32
	v_addc_co_u32_e32 v7, vcc, 0, v7, vcc
	s_waitcnt lgkmcnt(0)
	global_store_dword v[6:7], v8, off
	s_or_b64 exec, exec, s[0:1]
	s_and_saveexec_b64 s[0:1], s[48:49]
	s_cbranch_execnz .LBB24_152
.LBB24_163:
	s_or_b64 exec, exec, s[0:1]
	s_and_saveexec_b64 s[0:1], s[50:51]
	s_cbranch_execz .LBB24_165
.LBB24_164:
	v_lshlrev_b32_e32 v5, 3, v5
	ds_read_b64 v[5:6], v5
	ds_read_b32 v7, v12 offset:22784
	v_mov_b32_e32 v8, s63
	s_waitcnt lgkmcnt(1)
	v_lshlrev_b64 v[5:6], 2, v[5:6]
	v_add_co_u32_e32 v5, vcc, s62, v5
	v_addc_co_u32_e32 v6, vcc, v8, v6, vcc
	v_add_co_u32_e32 v5, vcc, v5, v34
	v_addc_co_u32_e32 v6, vcc, 0, v6, vcc
	s_waitcnt lgkmcnt(0)
	global_store_dword v[5:6], v7, off
.LBB24_165:
	s_or_b64 exec, exec, s[0:1]
	s_add_i32 s7, s7, -1
	s_cmp_eq_u32 s6, s7
	s_cselect_b64 s[0:1], -1, 0
	s_xor_b64 s[2:3], s[24:25], -1
	s_and_b64 s[2:3], s[2:3], s[0:1]
	s_and_saveexec_b64 s[0:1], s[2:3]
	s_cbranch_execz .LBB24_167
; %bb.166:
	ds_read_b64 v[5:6], v15
	v_add_co_u32_e32 v3, vcc, v3, v23
	v_addc_co_u32_e32 v4, vcc, 0, v4, vcc
	s_waitcnt lgkmcnt(0)
	v_add_co_u32_e32 v3, vcc, v3, v5
	v_addc_co_u32_e32 v4, vcc, v4, v6, vcc
	global_store_dwordx2 v15, v[3:4], s[66:67]
.LBB24_167:
	s_or_b64 exec, exec, s[0:1]
	s_mov_b64 s[0:1], 0
.LBB24_168:
	s_and_b64 vcc, exec, s[0:1]
	s_cbranch_vccz .LBB24_215
; %bb.169:
	s_mov_b32 s75, 0
	s_lshl_b64 s[8:9], s[74:75], 2
	s_add_u32 s0, s56, s8
	v_mbcnt_hi_u32_b32 v5, -1, v11
	s_addc_u32 s1, s57, s9
	v_and_b32_e32 v7, 0x1c0, v0
	v_lshlrev_b32_e32 v10, 2, v5
	v_mul_u32_u24_e32 v4, 12, v7
	v_mov_b32_e32 v6, s1
	v_add_co_u32_e32 v8, vcc, s0, v10
	v_addc_co_u32_e32 v6, vcc, 0, v6, vcc
	v_lshlrev_b32_e32 v11, 2, v4
	v_add_co_u32_e32 v8, vcc, v8, v11
	v_addc_co_u32_e32 v9, vcc, 0, v6, vcc
	s_load_dword s7, s[4:5], 0x50
	s_load_dword s0, s[4:5], 0x5c
	global_load_dword v4, v[8:9], off
	s_add_u32 s1, s4, 0x50
	s_addc_u32 s2, s5, 0
	v_mov_b32_e32 v3, 0
	s_waitcnt lgkmcnt(0)
	s_lshr_b32 s3, s0, 16
	s_cmp_lt_u32 s6, s7
	s_cselect_b32 s0, 12, 18
	s_add_u32 s0, s1, s0
	s_addc_u32 s1, s2, 0
	global_load_ushort v13, v3, s[0:1]
	global_load_dword v12, v[8:9], off offset:256
	global_load_dword v15, v[8:9], off offset:512
	;; [unrolled: 1-line block ×11, first 2 shown]
	s_lshl_b32 s0, -1, s69
	v_mad_u32_u24 v1, v2, s3, v1
	s_not_b32 s14, s0
	v_lshlrev_b32_e32 v9, 2, v0
	ds_write_b32 v9, v3 offset:32
	s_waitcnt vmcnt(0) lgkmcnt(0)
	s_barrier
	; wave barrier
	v_xor_b32_e32 v6, 0x80000000, v4
	v_lshrrev_b32_e32 v2, s68, v6
	v_and_b32_e32 v8, s14, v2
	v_mad_u64_u32 v[1:2], s[0:1], v1, v13, v[0:1]
	v_and_b32_e32 v13, 1, v8
	v_add_co_u32_e32 v14, vcc, -1, v13
	v_lshlrev_b32_e32 v4, 30, v8
	v_addc_co_u32_e64 v16, s[0:1], 0, -1, vcc
	v_mul_lo_u32 v2, v8, 36
	v_cmp_ne_u32_e32 vcc, 0, v13
	v_cmp_gt_i64_e64 s[0:1], 0, v[3:4]
	v_not_b32_e32 v13, v4
	v_lshlrev_b32_e32 v4, 29, v8
	v_xor_b32_e32 v16, vcc_hi, v16
	v_xor_b32_e32 v14, vcc_lo, v14
	v_ashrrev_i32_e32 v13, 31, v13
	v_cmp_gt_i64_e32 vcc, 0, v[3:4]
	v_not_b32_e32 v17, v4
	v_lshlrev_b32_e32 v4, 28, v8
	v_and_b32_e32 v16, exec_hi, v16
	v_and_b32_e32 v14, exec_lo, v14
	v_xor_b32_e32 v19, s1, v13
	v_xor_b32_e32 v13, s0, v13
	v_ashrrev_i32_e32 v17, 31, v17
	v_cmp_gt_i64_e64 s[0:1], 0, v[3:4]
	v_not_b32_e32 v21, v4
	v_lshlrev_b32_e32 v4, 27, v8
	v_lshrrev_b32_e32 v23, 6, v1
	v_and_b32_e32 v1, v16, v19
	v_and_b32_e32 v8, v14, v13
	v_xor_b32_e32 v13, vcc_hi, v17
	v_xor_b32_e32 v16, vcc_lo, v17
	v_ashrrev_i32_e32 v17, 31, v21
	v_cmp_gt_i64_e32 vcc, 0, v[3:4]
	v_not_b32_e32 v4, v4
	v_lshl_add_u32 v14, v23, 2, v2
	v_and_b32_e32 v1, v1, v13
	v_and_b32_e32 v2, v8, v16
	v_xor_b32_e32 v8, s1, v17
	v_xor_b32_e32 v13, s0, v17
	v_ashrrev_i32_e32 v4, 31, v4
	v_and_b32_e32 v1, v1, v8
	v_and_b32_e32 v8, v2, v13
	v_xor_b32_e32 v2, vcc_hi, v4
	v_xor_b32_e32 v4, vcc_lo, v4
	v_and_b32_e32 v2, v1, v2
	v_and_b32_e32 v1, v8, v4
	v_mbcnt_lo_u32_b32 v4, v1, 0
	v_mbcnt_hi_u32_b32 v8, v2, v4
	v_cmp_ne_u64_e32 vcc, 0, v[1:2]
	v_cmp_eq_u32_e64 s[0:1], 0, v8
	s_and_b64 s[2:3], vcc, s[0:1]
	s_and_saveexec_b64 s[0:1], s[2:3]
; %bb.170:
	v_bcnt_u32_b32 v1, v1, 0
	v_bcnt_u32_b32 v1, v2, v1
	ds_write_b32 v14, v1 offset:32
; %bb.171:
	s_or_b64 exec, exec, s[0:1]
	v_xor_b32_e32 v12, 0x80000000, v12
	v_lshrrev_b32_e32 v1, s68, v12
	v_and_b32_e32 v1, s14, v1
	v_mul_lo_u32 v2, v1, 36
	v_and_b32_e32 v4, 1, v1
	; wave barrier
	v_lshl_add_u32 v16, v23, 2, v2
	v_add_co_u32_e32 v2, vcc, -1, v4
	v_addc_co_u32_e64 v17, s[0:1], 0, -1, vcc
	v_cmp_ne_u32_e32 vcc, 0, v4
	v_xor_b32_e32 v4, vcc_hi, v17
	v_and_b32_e32 v17, exec_hi, v4
	v_lshlrev_b32_e32 v4, 30, v1
	v_xor_b32_e32 v2, vcc_lo, v2
	v_cmp_gt_i64_e32 vcc, 0, v[3:4]
	v_not_b32_e32 v4, v4
	v_ashrrev_i32_e32 v4, 31, v4
	v_and_b32_e32 v2, exec_lo, v2
	v_xor_b32_e32 v19, vcc_hi, v4
	v_xor_b32_e32 v4, vcc_lo, v4
	v_and_b32_e32 v2, v2, v4
	v_lshlrev_b32_e32 v4, 29, v1
	v_cmp_gt_i64_e32 vcc, 0, v[3:4]
	v_not_b32_e32 v4, v4
	v_ashrrev_i32_e32 v4, 31, v4
	v_and_b32_e32 v17, v17, v19
	v_xor_b32_e32 v19, vcc_hi, v4
	v_xor_b32_e32 v4, vcc_lo, v4
	v_and_b32_e32 v2, v2, v4
	v_lshlrev_b32_e32 v4, 28, v1
	v_cmp_gt_i64_e32 vcc, 0, v[3:4]
	v_not_b32_e32 v4, v4
	v_ashrrev_i32_e32 v4, 31, v4
	v_and_b32_e32 v17, v17, v19
	v_xor_b32_e32 v19, vcc_hi, v4
	v_xor_b32_e32 v4, vcc_lo, v4
	v_and_b32_e32 v17, v17, v19
	v_and_b32_e32 v19, v2, v4
	v_lshlrev_b32_e32 v4, 27, v1
	v_cmp_gt_i64_e32 vcc, 0, v[3:4]
	v_not_b32_e32 v1, v4
	v_ashrrev_i32_e32 v1, 31, v1
	v_xor_b32_e32 v2, vcc_hi, v1
	v_xor_b32_e32 v1, vcc_lo, v1
	ds_read_b32 v13, v16 offset:32
	v_and_b32_e32 v1, v19, v1
	v_and_b32_e32 v2, v17, v2
	v_mbcnt_lo_u32_b32 v3, v1, 0
	v_mbcnt_hi_u32_b32 v4, v2, v3
	v_cmp_ne_u64_e32 vcc, 0, v[1:2]
	v_cmp_eq_u32_e64 s[0:1], 0, v4
	s_and_b64 s[2:3], vcc, s[0:1]
	; wave barrier
	s_and_saveexec_b64 s[0:1], s[2:3]
	s_cbranch_execz .LBB24_173
; %bb.172:
	v_bcnt_u32_b32 v1, v1, 0
	v_bcnt_u32_b32 v1, v2, v1
	s_waitcnt lgkmcnt(0)
	v_add_u32_e32 v1, v13, v1
	ds_write_b32 v16, v1 offset:32
.LBB24_173:
	s_or_b64 exec, exec, s[0:1]
	v_xor_b32_e32 v15, 0x80000000, v15
	v_lshrrev_b32_e32 v1, s68, v15
	v_and_b32_e32 v3, s14, v1
	v_mul_lo_u32 v1, v3, 36
	v_and_b32_e32 v2, 1, v3
	v_add_co_u32_e32 v19, vcc, -1, v2
	v_addc_co_u32_e64 v22, s[0:1], 0, -1, vcc
	v_cmp_ne_u32_e32 vcc, 0, v2
	v_xor_b32_e32 v2, vcc_hi, v22
	v_lshl_add_u32 v21, v23, 2, v1
	v_mov_b32_e32 v1, 0
	v_and_b32_e32 v22, exec_hi, v2
	v_lshlrev_b32_e32 v2, 30, v3
	v_xor_b32_e32 v19, vcc_lo, v19
	v_cmp_gt_i64_e32 vcc, 0, v[1:2]
	v_not_b32_e32 v2, v2
	v_ashrrev_i32_e32 v2, 31, v2
	v_and_b32_e32 v19, exec_lo, v19
	v_xor_b32_e32 v25, vcc_hi, v2
	v_xor_b32_e32 v2, vcc_lo, v2
	v_and_b32_e32 v19, v19, v2
	v_lshlrev_b32_e32 v2, 29, v3
	v_cmp_gt_i64_e32 vcc, 0, v[1:2]
	v_not_b32_e32 v2, v2
	v_ashrrev_i32_e32 v2, 31, v2
	v_and_b32_e32 v22, v22, v25
	v_xor_b32_e32 v25, vcc_hi, v2
	v_xor_b32_e32 v2, vcc_lo, v2
	v_and_b32_e32 v19, v19, v2
	v_lshlrev_b32_e32 v2, 28, v3
	v_cmp_gt_i64_e32 vcc, 0, v[1:2]
	v_not_b32_e32 v2, v2
	v_ashrrev_i32_e32 v2, 31, v2
	v_and_b32_e32 v22, v22, v25
	v_xor_b32_e32 v25, vcc_hi, v2
	v_xor_b32_e32 v2, vcc_lo, v2
	v_and_b32_e32 v19, v19, v2
	v_lshlrev_b32_e32 v2, 27, v3
	v_cmp_gt_i64_e32 vcc, 0, v[1:2]
	v_not_b32_e32 v2, v2
	v_ashrrev_i32_e32 v2, 31, v2
	v_xor_b32_e32 v3, vcc_hi, v2
	v_xor_b32_e32 v2, vcc_lo, v2
	; wave barrier
	ds_read_b32 v17, v21 offset:32
	v_and_b32_e32 v22, v22, v25
	v_and_b32_e32 v2, v19, v2
	v_and_b32_e32 v3, v22, v3
	v_mbcnt_lo_u32_b32 v19, v2, 0
	v_mbcnt_hi_u32_b32 v19, v3, v19
	v_cmp_ne_u64_e32 vcc, 0, v[2:3]
	v_cmp_eq_u32_e64 s[0:1], 0, v19
	s_and_b64 s[2:3], vcc, s[0:1]
	; wave barrier
	s_and_saveexec_b64 s[0:1], s[2:3]
	s_cbranch_execz .LBB24_175
; %bb.174:
	v_bcnt_u32_b32 v2, v2, 0
	v_bcnt_u32_b32 v2, v3, v2
	s_waitcnt lgkmcnt(0)
	v_add_u32_e32 v2, v17, v2
	ds_write_b32 v21, v2 offset:32
.LBB24_175:
	s_or_b64 exec, exec, s[0:1]
	v_xor_b32_e32 v20, 0x80000000, v20
	v_lshrrev_b32_e32 v2, s68, v20
	v_and_b32_e32 v3, s14, v2
	v_mul_lo_u32 v2, v3, 36
	v_and_b32_e32 v25, 1, v3
	; wave barrier
	v_lshl_add_u32 v27, v23, 2, v2
	v_add_co_u32_e32 v2, vcc, -1, v25
	v_addc_co_u32_e64 v28, s[0:1], 0, -1, vcc
	v_cmp_ne_u32_e32 vcc, 0, v25
	v_xor_b32_e32 v2, vcc_lo, v2
	v_xor_b32_e32 v25, vcc_hi, v28
	v_and_b32_e32 v28, exec_lo, v2
	v_lshlrev_b32_e32 v2, 30, v3
	v_cmp_gt_i64_e32 vcc, 0, v[1:2]
	v_not_b32_e32 v2, v2
	v_ashrrev_i32_e32 v2, 31, v2
	v_xor_b32_e32 v30, vcc_hi, v2
	v_xor_b32_e32 v2, vcc_lo, v2
	v_and_b32_e32 v28, v28, v2
	v_lshlrev_b32_e32 v2, 29, v3
	v_cmp_gt_i64_e32 vcc, 0, v[1:2]
	v_not_b32_e32 v2, v2
	v_and_b32_e32 v25, exec_hi, v25
	v_ashrrev_i32_e32 v2, 31, v2
	v_and_b32_e32 v25, v25, v30
	v_xor_b32_e32 v30, vcc_hi, v2
	v_xor_b32_e32 v2, vcc_lo, v2
	v_and_b32_e32 v28, v28, v2
	v_lshlrev_b32_e32 v2, 28, v3
	v_cmp_gt_i64_e32 vcc, 0, v[1:2]
	v_not_b32_e32 v2, v2
	v_ashrrev_i32_e32 v2, 31, v2
	v_and_b32_e32 v25, v25, v30
	v_xor_b32_e32 v30, vcc_hi, v2
	v_xor_b32_e32 v2, vcc_lo, v2
	v_and_b32_e32 v28, v28, v2
	v_lshlrev_b32_e32 v2, 27, v3
	v_cmp_gt_i64_e32 vcc, 0, v[1:2]
	v_not_b32_e32 v1, v2
	v_ashrrev_i32_e32 v1, 31, v1
	v_xor_b32_e32 v2, vcc_hi, v1
	v_xor_b32_e32 v1, vcc_lo, v1
	ds_read_b32 v22, v27 offset:32
	v_and_b32_e32 v25, v25, v30
	v_and_b32_e32 v1, v28, v1
	;; [unrolled: 1-line block ×3, first 2 shown]
	v_mbcnt_lo_u32_b32 v3, v1, 0
	v_mbcnt_hi_u32_b32 v25, v2, v3
	v_cmp_ne_u64_e32 vcc, 0, v[1:2]
	v_cmp_eq_u32_e64 s[0:1], 0, v25
	s_and_b64 s[2:3], vcc, s[0:1]
	; wave barrier
	s_and_saveexec_b64 s[0:1], s[2:3]
	s_cbranch_execz .LBB24_177
; %bb.176:
	v_bcnt_u32_b32 v1, v1, 0
	v_bcnt_u32_b32 v1, v2, v1
	s_waitcnt lgkmcnt(0)
	v_add_u32_e32 v1, v22, v1
	ds_write_b32 v27, v1 offset:32
.LBB24_177:
	s_or_b64 exec, exec, s[0:1]
	v_xor_b32_e32 v26, 0x80000000, v26
	v_lshrrev_b32_e32 v1, s68, v26
	v_and_b32_e32 v3, s14, v1
	v_mul_lo_u32 v1, v3, 36
	v_and_b32_e32 v2, 1, v3
	v_add_co_u32_e32 v30, vcc, -1, v2
	v_addc_co_u32_e64 v33, s[0:1], 0, -1, vcc
	v_cmp_ne_u32_e32 vcc, 0, v2
	v_xor_b32_e32 v2, vcc_hi, v33
	v_lshl_add_u32 v32, v23, 2, v1
	v_mov_b32_e32 v1, 0
	v_and_b32_e32 v33, exec_hi, v2
	v_lshlrev_b32_e32 v2, 30, v3
	v_xor_b32_e32 v30, vcc_lo, v30
	v_cmp_gt_i64_e32 vcc, 0, v[1:2]
	v_not_b32_e32 v2, v2
	v_ashrrev_i32_e32 v2, 31, v2
	v_and_b32_e32 v30, exec_lo, v30
	v_xor_b32_e32 v35, vcc_hi, v2
	v_xor_b32_e32 v2, vcc_lo, v2
	v_and_b32_e32 v30, v30, v2
	v_lshlrev_b32_e32 v2, 29, v3
	v_cmp_gt_i64_e32 vcc, 0, v[1:2]
	v_not_b32_e32 v2, v2
	v_ashrrev_i32_e32 v2, 31, v2
	v_and_b32_e32 v33, v33, v35
	v_xor_b32_e32 v35, vcc_hi, v2
	v_xor_b32_e32 v2, vcc_lo, v2
	v_and_b32_e32 v30, v30, v2
	v_lshlrev_b32_e32 v2, 28, v3
	v_cmp_gt_i64_e32 vcc, 0, v[1:2]
	v_not_b32_e32 v2, v2
	v_ashrrev_i32_e32 v2, 31, v2
	v_and_b32_e32 v33, v33, v35
	v_xor_b32_e32 v35, vcc_hi, v2
	v_xor_b32_e32 v2, vcc_lo, v2
	v_and_b32_e32 v30, v30, v2
	v_lshlrev_b32_e32 v2, 27, v3
	v_cmp_gt_i64_e32 vcc, 0, v[1:2]
	v_not_b32_e32 v2, v2
	v_ashrrev_i32_e32 v2, 31, v2
	v_xor_b32_e32 v3, vcc_hi, v2
	v_xor_b32_e32 v2, vcc_lo, v2
	; wave barrier
	ds_read_b32 v28, v32 offset:32
	v_and_b32_e32 v33, v33, v35
	v_and_b32_e32 v2, v30, v2
	;; [unrolled: 1-line block ×3, first 2 shown]
	v_mbcnt_lo_u32_b32 v30, v2, 0
	v_mbcnt_hi_u32_b32 v30, v3, v30
	v_cmp_ne_u64_e32 vcc, 0, v[2:3]
	v_cmp_eq_u32_e64 s[0:1], 0, v30
	s_and_b64 s[2:3], vcc, s[0:1]
	; wave barrier
	s_and_saveexec_b64 s[0:1], s[2:3]
	s_cbranch_execz .LBB24_179
; %bb.178:
	v_bcnt_u32_b32 v2, v2, 0
	v_bcnt_u32_b32 v2, v3, v2
	s_waitcnt lgkmcnt(0)
	v_add_u32_e32 v2, v28, v2
	ds_write_b32 v32, v2 offset:32
.LBB24_179:
	s_or_b64 exec, exec, s[0:1]
	v_xor_b32_e32 v31, 0x80000000, v31
	v_lshrrev_b32_e32 v2, s68, v31
	v_and_b32_e32 v3, s14, v2
	v_mul_lo_u32 v2, v3, 36
	v_and_b32_e32 v35, 1, v3
	; wave barrier
	v_lshl_add_u32 v37, v23, 2, v2
	v_add_co_u32_e32 v2, vcc, -1, v35
	v_addc_co_u32_e64 v38, s[0:1], 0, -1, vcc
	v_cmp_ne_u32_e32 vcc, 0, v35
	v_xor_b32_e32 v2, vcc_lo, v2
	v_xor_b32_e32 v35, vcc_hi, v38
	v_and_b32_e32 v38, exec_lo, v2
	v_lshlrev_b32_e32 v2, 30, v3
	v_cmp_gt_i64_e32 vcc, 0, v[1:2]
	v_not_b32_e32 v2, v2
	v_ashrrev_i32_e32 v2, 31, v2
	v_xor_b32_e32 v39, vcc_hi, v2
	v_xor_b32_e32 v2, vcc_lo, v2
	v_and_b32_e32 v38, v38, v2
	v_lshlrev_b32_e32 v2, 29, v3
	v_cmp_gt_i64_e32 vcc, 0, v[1:2]
	v_not_b32_e32 v2, v2
	v_and_b32_e32 v35, exec_hi, v35
	v_ashrrev_i32_e32 v2, 31, v2
	v_and_b32_e32 v35, v35, v39
	v_xor_b32_e32 v39, vcc_hi, v2
	v_xor_b32_e32 v2, vcc_lo, v2
	v_and_b32_e32 v38, v38, v2
	v_lshlrev_b32_e32 v2, 28, v3
	v_cmp_gt_i64_e32 vcc, 0, v[1:2]
	v_not_b32_e32 v2, v2
	v_ashrrev_i32_e32 v2, 31, v2
	v_and_b32_e32 v35, v35, v39
	v_xor_b32_e32 v39, vcc_hi, v2
	v_xor_b32_e32 v2, vcc_lo, v2
	v_and_b32_e32 v38, v38, v2
	v_lshlrev_b32_e32 v2, 27, v3
	v_cmp_gt_i64_e32 vcc, 0, v[1:2]
	v_not_b32_e32 v1, v2
	v_ashrrev_i32_e32 v1, 31, v1
	v_xor_b32_e32 v2, vcc_hi, v1
	v_xor_b32_e32 v1, vcc_lo, v1
	ds_read_b32 v33, v37 offset:32
	v_and_b32_e32 v35, v35, v39
	v_and_b32_e32 v1, v38, v1
	;; [unrolled: 1-line block ×3, first 2 shown]
	v_mbcnt_lo_u32_b32 v3, v1, 0
	v_mbcnt_hi_u32_b32 v35, v2, v3
	v_cmp_ne_u64_e32 vcc, 0, v[1:2]
	v_cmp_eq_u32_e64 s[0:1], 0, v35
	s_and_b64 s[2:3], vcc, s[0:1]
	; wave barrier
	s_and_saveexec_b64 s[0:1], s[2:3]
	s_cbranch_execz .LBB24_181
; %bb.180:
	v_bcnt_u32_b32 v1, v1, 0
	v_bcnt_u32_b32 v1, v2, v1
	s_waitcnt lgkmcnt(0)
	v_add_u32_e32 v1, v33, v1
	ds_write_b32 v37, v1 offset:32
.LBB24_181:
	s_or_b64 exec, exec, s[0:1]
	v_xor_b32_e32 v36, 0x80000000, v36
	v_lshrrev_b32_e32 v1, s68, v36
	v_and_b32_e32 v3, s14, v1
	v_mul_lo_u32 v1, v3, 36
	v_and_b32_e32 v2, 1, v3
	v_add_co_u32_e32 v39, vcc, -1, v2
	v_addc_co_u32_e64 v41, s[0:1], 0, -1, vcc
	v_cmp_ne_u32_e32 vcc, 0, v2
	v_xor_b32_e32 v2, vcc_hi, v41
	v_lshl_add_u32 v42, v23, 2, v1
	v_mov_b32_e32 v1, 0
	v_and_b32_e32 v41, exec_hi, v2
	v_lshlrev_b32_e32 v2, 30, v3
	v_xor_b32_e32 v39, vcc_lo, v39
	v_cmp_gt_i64_e32 vcc, 0, v[1:2]
	v_not_b32_e32 v2, v2
	v_ashrrev_i32_e32 v2, 31, v2
	v_and_b32_e32 v39, exec_lo, v39
	v_xor_b32_e32 v43, vcc_hi, v2
	v_xor_b32_e32 v2, vcc_lo, v2
	v_and_b32_e32 v39, v39, v2
	v_lshlrev_b32_e32 v2, 29, v3
	v_cmp_gt_i64_e32 vcc, 0, v[1:2]
	v_not_b32_e32 v2, v2
	v_ashrrev_i32_e32 v2, 31, v2
	v_and_b32_e32 v41, v41, v43
	v_xor_b32_e32 v43, vcc_hi, v2
	v_xor_b32_e32 v2, vcc_lo, v2
	v_and_b32_e32 v39, v39, v2
	v_lshlrev_b32_e32 v2, 28, v3
	v_cmp_gt_i64_e32 vcc, 0, v[1:2]
	v_not_b32_e32 v2, v2
	v_ashrrev_i32_e32 v2, 31, v2
	v_and_b32_e32 v41, v41, v43
	v_xor_b32_e32 v43, vcc_hi, v2
	v_xor_b32_e32 v2, vcc_lo, v2
	v_and_b32_e32 v39, v39, v2
	v_lshlrev_b32_e32 v2, 27, v3
	v_cmp_gt_i64_e32 vcc, 0, v[1:2]
	v_not_b32_e32 v2, v2
	v_ashrrev_i32_e32 v2, 31, v2
	v_xor_b32_e32 v3, vcc_hi, v2
	v_xor_b32_e32 v2, vcc_lo, v2
	; wave barrier
	ds_read_b32 v38, v42 offset:32
	v_and_b32_e32 v41, v41, v43
	v_and_b32_e32 v2, v39, v2
	;; [unrolled: 1-line block ×3, first 2 shown]
	v_mbcnt_lo_u32_b32 v39, v2, 0
	v_mbcnt_hi_u32_b32 v39, v3, v39
	v_cmp_ne_u64_e32 vcc, 0, v[2:3]
	v_cmp_eq_u32_e64 s[0:1], 0, v39
	s_and_b64 s[2:3], vcc, s[0:1]
	; wave barrier
	s_and_saveexec_b64 s[0:1], s[2:3]
	s_cbranch_execz .LBB24_183
; %bb.182:
	v_bcnt_u32_b32 v2, v2, 0
	v_bcnt_u32_b32 v2, v3, v2
	s_waitcnt lgkmcnt(0)
	v_add_u32_e32 v2, v38, v2
	ds_write_b32 v42, v2 offset:32
.LBB24_183:
	s_or_b64 exec, exec, s[0:1]
	v_xor_b32_e32 v40, 0x80000000, v40
	v_lshrrev_b32_e32 v2, s68, v40
	v_and_b32_e32 v3, s14, v2
	v_mul_lo_u32 v2, v3, 36
	v_and_b32_e32 v43, 1, v3
	; wave barrier
	v_lshl_add_u32 v45, v23, 2, v2
	v_add_co_u32_e32 v2, vcc, -1, v43
	v_addc_co_u32_e64 v44, s[0:1], 0, -1, vcc
	v_cmp_ne_u32_e32 vcc, 0, v43
	v_xor_b32_e32 v2, vcc_lo, v2
	v_xor_b32_e32 v43, vcc_hi, v44
	v_and_b32_e32 v44, exec_lo, v2
	v_lshlrev_b32_e32 v2, 30, v3
	v_cmp_gt_i64_e32 vcc, 0, v[1:2]
	v_not_b32_e32 v2, v2
	v_ashrrev_i32_e32 v2, 31, v2
	v_xor_b32_e32 v46, vcc_hi, v2
	v_xor_b32_e32 v2, vcc_lo, v2
	v_and_b32_e32 v44, v44, v2
	v_lshlrev_b32_e32 v2, 29, v3
	v_cmp_gt_i64_e32 vcc, 0, v[1:2]
	v_not_b32_e32 v2, v2
	v_and_b32_e32 v43, exec_hi, v43
	v_ashrrev_i32_e32 v2, 31, v2
	v_and_b32_e32 v43, v43, v46
	v_xor_b32_e32 v46, vcc_hi, v2
	v_xor_b32_e32 v2, vcc_lo, v2
	v_and_b32_e32 v44, v44, v2
	v_lshlrev_b32_e32 v2, 28, v3
	v_cmp_gt_i64_e32 vcc, 0, v[1:2]
	v_not_b32_e32 v2, v2
	v_ashrrev_i32_e32 v2, 31, v2
	v_and_b32_e32 v43, v43, v46
	v_xor_b32_e32 v46, vcc_hi, v2
	v_xor_b32_e32 v2, vcc_lo, v2
	v_and_b32_e32 v44, v44, v2
	v_lshlrev_b32_e32 v2, 27, v3
	v_cmp_gt_i64_e32 vcc, 0, v[1:2]
	v_not_b32_e32 v1, v2
	v_ashrrev_i32_e32 v1, 31, v1
	v_xor_b32_e32 v2, vcc_hi, v1
	v_xor_b32_e32 v1, vcc_lo, v1
	ds_read_b32 v41, v45 offset:32
	v_and_b32_e32 v43, v43, v46
	v_and_b32_e32 v1, v44, v1
	;; [unrolled: 1-line block ×3, first 2 shown]
	v_mbcnt_lo_u32_b32 v3, v1, 0
	v_mbcnt_hi_u32_b32 v43, v2, v3
	v_cmp_ne_u64_e32 vcc, 0, v[1:2]
	v_cmp_eq_u32_e64 s[0:1], 0, v43
	s_and_b64 s[2:3], vcc, s[0:1]
	; wave barrier
	s_and_saveexec_b64 s[0:1], s[2:3]
	s_cbranch_execz .LBB24_185
; %bb.184:
	v_bcnt_u32_b32 v1, v1, 0
	v_bcnt_u32_b32 v1, v2, v1
	s_waitcnt lgkmcnt(0)
	v_add_u32_e32 v1, v41, v1
	ds_write_b32 v45, v1 offset:32
.LBB24_185:
	s_or_b64 exec, exec, s[0:1]
	v_xor_b32_e32 v34, 0x80000000, v34
	v_lshrrev_b32_e32 v1, s68, v34
	v_and_b32_e32 v3, s14, v1
	v_mul_lo_u32 v1, v3, 36
	v_and_b32_e32 v2, 1, v3
	v_add_co_u32_e32 v46, vcc, -1, v2
	v_addc_co_u32_e64 v47, s[0:1], 0, -1, vcc
	v_cmp_ne_u32_e32 vcc, 0, v2
	v_xor_b32_e32 v2, vcc_hi, v47
	v_lshl_add_u32 v48, v23, 2, v1
	v_mov_b32_e32 v1, 0
	v_and_b32_e32 v47, exec_hi, v2
	v_lshlrev_b32_e32 v2, 30, v3
	v_xor_b32_e32 v46, vcc_lo, v46
	v_cmp_gt_i64_e32 vcc, 0, v[1:2]
	v_not_b32_e32 v2, v2
	v_ashrrev_i32_e32 v2, 31, v2
	v_and_b32_e32 v46, exec_lo, v46
	v_xor_b32_e32 v49, vcc_hi, v2
	v_xor_b32_e32 v2, vcc_lo, v2
	v_and_b32_e32 v46, v46, v2
	v_lshlrev_b32_e32 v2, 29, v3
	v_cmp_gt_i64_e32 vcc, 0, v[1:2]
	v_not_b32_e32 v2, v2
	v_ashrrev_i32_e32 v2, 31, v2
	v_and_b32_e32 v47, v47, v49
	v_xor_b32_e32 v49, vcc_hi, v2
	v_xor_b32_e32 v2, vcc_lo, v2
	v_and_b32_e32 v46, v46, v2
	v_lshlrev_b32_e32 v2, 28, v3
	v_cmp_gt_i64_e32 vcc, 0, v[1:2]
	v_not_b32_e32 v2, v2
	v_ashrrev_i32_e32 v2, 31, v2
	v_and_b32_e32 v47, v47, v49
	v_xor_b32_e32 v49, vcc_hi, v2
	v_xor_b32_e32 v2, vcc_lo, v2
	v_and_b32_e32 v46, v46, v2
	v_lshlrev_b32_e32 v2, 27, v3
	v_cmp_gt_i64_e32 vcc, 0, v[1:2]
	v_not_b32_e32 v2, v2
	v_ashrrev_i32_e32 v2, 31, v2
	v_xor_b32_e32 v3, vcc_hi, v2
	v_xor_b32_e32 v2, vcc_lo, v2
	; wave barrier
	ds_read_b32 v44, v48 offset:32
	v_and_b32_e32 v47, v47, v49
	v_and_b32_e32 v2, v46, v2
	v_and_b32_e32 v3, v47, v3
	v_mbcnt_lo_u32_b32 v46, v2, 0
	v_mbcnt_hi_u32_b32 v46, v3, v46
	v_cmp_ne_u64_e32 vcc, 0, v[2:3]
	v_cmp_eq_u32_e64 s[0:1], 0, v46
	s_and_b64 s[2:3], vcc, s[0:1]
	; wave barrier
	s_and_saveexec_b64 s[0:1], s[2:3]
	s_cbranch_execz .LBB24_187
; %bb.186:
	v_bcnt_u32_b32 v2, v2, 0
	v_bcnt_u32_b32 v2, v3, v2
	s_waitcnt lgkmcnt(0)
	v_add_u32_e32 v2, v44, v2
	ds_write_b32 v48, v2 offset:32
.LBB24_187:
	s_or_b64 exec, exec, s[0:1]
	v_xor_b32_e32 v29, 0x80000000, v29
	v_lshrrev_b32_e32 v2, s68, v29
	v_and_b32_e32 v3, s14, v2
	v_mul_lo_u32 v2, v3, 36
	v_and_b32_e32 v49, 1, v3
	; wave barrier
	v_lshl_add_u32 v51, v23, 2, v2
	v_add_co_u32_e32 v2, vcc, -1, v49
	v_addc_co_u32_e64 v50, s[0:1], 0, -1, vcc
	v_cmp_ne_u32_e32 vcc, 0, v49
	v_xor_b32_e32 v2, vcc_lo, v2
	v_xor_b32_e32 v49, vcc_hi, v50
	v_and_b32_e32 v50, exec_lo, v2
	v_lshlrev_b32_e32 v2, 30, v3
	v_cmp_gt_i64_e32 vcc, 0, v[1:2]
	v_not_b32_e32 v2, v2
	v_ashrrev_i32_e32 v2, 31, v2
	v_xor_b32_e32 v52, vcc_hi, v2
	v_xor_b32_e32 v2, vcc_lo, v2
	v_and_b32_e32 v50, v50, v2
	v_lshlrev_b32_e32 v2, 29, v3
	v_cmp_gt_i64_e32 vcc, 0, v[1:2]
	v_not_b32_e32 v2, v2
	v_and_b32_e32 v49, exec_hi, v49
	v_ashrrev_i32_e32 v2, 31, v2
	v_and_b32_e32 v49, v49, v52
	v_xor_b32_e32 v52, vcc_hi, v2
	v_xor_b32_e32 v2, vcc_lo, v2
	v_and_b32_e32 v50, v50, v2
	v_lshlrev_b32_e32 v2, 28, v3
	v_cmp_gt_i64_e32 vcc, 0, v[1:2]
	v_not_b32_e32 v2, v2
	v_ashrrev_i32_e32 v2, 31, v2
	v_and_b32_e32 v49, v49, v52
	v_xor_b32_e32 v52, vcc_hi, v2
	v_xor_b32_e32 v2, vcc_lo, v2
	v_and_b32_e32 v50, v50, v2
	v_lshlrev_b32_e32 v2, 27, v3
	v_cmp_gt_i64_e32 vcc, 0, v[1:2]
	v_not_b32_e32 v1, v2
	v_ashrrev_i32_e32 v1, 31, v1
	v_xor_b32_e32 v2, vcc_hi, v1
	v_xor_b32_e32 v1, vcc_lo, v1
	ds_read_b32 v47, v51 offset:32
	v_and_b32_e32 v49, v49, v52
	v_and_b32_e32 v1, v50, v1
	;; [unrolled: 1-line block ×3, first 2 shown]
	v_mbcnt_lo_u32_b32 v3, v1, 0
	v_mbcnt_hi_u32_b32 v49, v2, v3
	v_cmp_ne_u64_e32 vcc, 0, v[1:2]
	v_cmp_eq_u32_e64 s[0:1], 0, v49
	s_and_b64 s[2:3], vcc, s[0:1]
	; wave barrier
	s_and_saveexec_b64 s[0:1], s[2:3]
	s_cbranch_execz .LBB24_189
; %bb.188:
	v_bcnt_u32_b32 v1, v1, 0
	v_bcnt_u32_b32 v1, v2, v1
	s_waitcnt lgkmcnt(0)
	v_add_u32_e32 v1, v47, v1
	ds_write_b32 v51, v1 offset:32
.LBB24_189:
	s_or_b64 exec, exec, s[0:1]
	v_xor_b32_e32 v50, 0x80000000, v24
	v_lshrrev_b32_e32 v1, s68, v50
	v_and_b32_e32 v3, s14, v1
	v_mul_lo_u32 v1, v3, 36
	v_and_b32_e32 v2, 1, v3
	v_add_co_u32_e32 v52, vcc, -1, v2
	v_addc_co_u32_e64 v53, s[0:1], 0, -1, vcc
	v_cmp_ne_u32_e32 vcc, 0, v2
	v_xor_b32_e32 v2, vcc_hi, v53
	v_lshl_add_u32 v54, v23, 2, v1
	v_mov_b32_e32 v1, 0
	v_and_b32_e32 v53, exec_hi, v2
	v_lshlrev_b32_e32 v2, 30, v3
	v_xor_b32_e32 v52, vcc_lo, v52
	v_cmp_gt_i64_e32 vcc, 0, v[1:2]
	v_not_b32_e32 v2, v2
	v_ashrrev_i32_e32 v2, 31, v2
	v_and_b32_e32 v52, exec_lo, v52
	v_xor_b32_e32 v55, vcc_hi, v2
	v_xor_b32_e32 v2, vcc_lo, v2
	v_and_b32_e32 v52, v52, v2
	v_lshlrev_b32_e32 v2, 29, v3
	v_cmp_gt_i64_e32 vcc, 0, v[1:2]
	v_not_b32_e32 v2, v2
	v_ashrrev_i32_e32 v2, 31, v2
	v_and_b32_e32 v53, v53, v55
	v_xor_b32_e32 v55, vcc_hi, v2
	v_xor_b32_e32 v2, vcc_lo, v2
	v_and_b32_e32 v52, v52, v2
	v_lshlrev_b32_e32 v2, 28, v3
	v_cmp_gt_i64_e32 vcc, 0, v[1:2]
	v_not_b32_e32 v2, v2
	v_ashrrev_i32_e32 v2, 31, v2
	v_and_b32_e32 v53, v53, v55
	v_xor_b32_e32 v55, vcc_hi, v2
	v_xor_b32_e32 v2, vcc_lo, v2
	v_and_b32_e32 v52, v52, v2
	v_lshlrev_b32_e32 v2, 27, v3
	v_cmp_gt_i64_e32 vcc, 0, v[1:2]
	v_not_b32_e32 v2, v2
	v_ashrrev_i32_e32 v2, 31, v2
	v_xor_b32_e32 v3, vcc_hi, v2
	v_xor_b32_e32 v2, vcc_lo, v2
	; wave barrier
	ds_read_b32 v24, v54 offset:32
	v_and_b32_e32 v53, v53, v55
	v_and_b32_e32 v2, v52, v2
	;; [unrolled: 1-line block ×3, first 2 shown]
	v_mbcnt_lo_u32_b32 v52, v2, 0
	v_mbcnt_hi_u32_b32 v52, v3, v52
	v_cmp_ne_u64_e32 vcc, 0, v[2:3]
	v_cmp_eq_u32_e64 s[0:1], 0, v52
	s_and_b64 s[2:3], vcc, s[0:1]
	; wave barrier
	s_and_saveexec_b64 s[0:1], s[2:3]
	s_cbranch_execz .LBB24_191
; %bb.190:
	v_bcnt_u32_b32 v2, v2, 0
	v_bcnt_u32_b32 v2, v3, v2
	s_waitcnt lgkmcnt(0)
	v_add_u32_e32 v2, v24, v2
	ds_write_b32 v54, v2 offset:32
.LBB24_191:
	s_or_b64 exec, exec, s[0:1]
	v_xor_b32_e32 v3, 0x80000000, v18
	v_lshrrev_b32_e32 v2, s68, v3
	v_and_b32_e32 v55, s14, v2
	v_mul_lo_u32 v2, v55, 36
	v_and_b32_e32 v56, 1, v55
	; wave barrier
	v_lshl_add_u32 v18, v23, 2, v2
	v_add_co_u32_e32 v2, vcc, -1, v56
	v_addc_co_u32_e64 v23, s[0:1], 0, -1, vcc
	v_cmp_ne_u32_e32 vcc, 0, v56
	v_xor_b32_e32 v2, vcc_lo, v2
	v_and_b32_e32 v56, exec_lo, v2
	v_lshlrev_b32_e32 v2, 30, v55
	v_xor_b32_e32 v23, vcc_hi, v23
	v_cmp_gt_i64_e32 vcc, 0, v[1:2]
	v_not_b32_e32 v2, v2
	v_ashrrev_i32_e32 v2, 31, v2
	v_xor_b32_e32 v57, vcc_hi, v2
	v_xor_b32_e32 v2, vcc_lo, v2
	v_and_b32_e32 v56, v56, v2
	v_lshlrev_b32_e32 v2, 29, v55
	v_cmp_gt_i64_e32 vcc, 0, v[1:2]
	v_not_b32_e32 v2, v2
	v_and_b32_e32 v23, exec_hi, v23
	v_ashrrev_i32_e32 v2, 31, v2
	v_and_b32_e32 v23, v23, v57
	v_xor_b32_e32 v57, vcc_hi, v2
	v_xor_b32_e32 v2, vcc_lo, v2
	v_and_b32_e32 v56, v56, v2
	v_lshlrev_b32_e32 v2, 28, v55
	v_cmp_gt_i64_e32 vcc, 0, v[1:2]
	v_not_b32_e32 v2, v2
	v_ashrrev_i32_e32 v2, 31, v2
	v_and_b32_e32 v23, v23, v57
	v_xor_b32_e32 v57, vcc_hi, v2
	v_xor_b32_e32 v2, vcc_lo, v2
	v_and_b32_e32 v56, v56, v2
	v_lshlrev_b32_e32 v2, 27, v55
	v_cmp_gt_i64_e32 vcc, 0, v[1:2]
	v_not_b32_e32 v1, v2
	v_ashrrev_i32_e32 v1, 31, v1
	v_xor_b32_e32 v2, vcc_hi, v1
	v_xor_b32_e32 v1, vcc_lo, v1
	ds_read_b32 v53, v18 offset:32
	v_and_b32_e32 v23, v23, v57
	v_and_b32_e32 v1, v56, v1
	;; [unrolled: 1-line block ×3, first 2 shown]
	v_mbcnt_lo_u32_b32 v23, v1, 0
	v_mbcnt_hi_u32_b32 v55, v2, v23
	v_cmp_ne_u64_e32 vcc, 0, v[1:2]
	v_cmp_eq_u32_e64 s[0:1], 0, v55
	s_and_b64 s[2:3], vcc, s[0:1]
	; wave barrier
	s_and_saveexec_b64 s[0:1], s[2:3]
	s_cbranch_execz .LBB24_193
; %bb.192:
	v_bcnt_u32_b32 v1, v1, 0
	v_bcnt_u32_b32 v1, v2, v1
	s_waitcnt lgkmcnt(0)
	v_add_u32_e32 v1, v53, v1
	ds_write_b32 v18, v1 offset:32
.LBB24_193:
	s_or_b64 exec, exec, s[0:1]
	; wave barrier
	s_waitcnt lgkmcnt(0)
	s_barrier
	ds_read_b32 v1, v9 offset:32
	v_and_b32_e32 v2, 15, v5
	v_cmp_ne_u32_e32 vcc, 0, v2
	v_min_u32_e32 v7, 0x1c0, v7
	v_or_b32_e32 v7, 63, v7
	s_waitcnt lgkmcnt(0)
	v_mov_b32_dpp v23, v1 row_shr:1 row_mask:0xf bank_mask:0xf
	v_cndmask_b32_e32 v23, 0, v23, vcc
	v_add_u32_e32 v1, v23, v1
	v_cmp_lt_u32_e32 vcc, 1, v2
	s_nop 0
	v_mov_b32_dpp v23, v1 row_shr:2 row_mask:0xf bank_mask:0xf
	v_cndmask_b32_e32 v23, 0, v23, vcc
	v_add_u32_e32 v1, v1, v23
	v_cmp_lt_u32_e32 vcc, 3, v2
	s_nop 0
	;; [unrolled: 5-line block ×3, first 2 shown]
	v_mov_b32_dpp v23, v1 row_shr:8 row_mask:0xf bank_mask:0xf
	v_cndmask_b32_e32 v2, 0, v23, vcc
	v_add_u32_e32 v1, v1, v2
	v_bfe_i32 v23, v5, 4, 1
	v_cmp_lt_u32_e32 vcc, 31, v5
	v_mov_b32_dpp v2, v1 row_bcast:15 row_mask:0xf bank_mask:0xf
	v_and_b32_e32 v2, v23, v2
	v_add_u32_e32 v1, v1, v2
	s_nop 1
	v_mov_b32_dpp v2, v1 row_bcast:31 row_mask:0xf bank_mask:0xf
	v_cndmask_b32_e32 v2, 0, v2, vcc
	v_add_u32_e32 v1, v1, v2
	v_lshrrev_b32_e32 v2, 6, v0
	v_cmp_eq_u32_e32 vcc, v0, v7
	s_and_saveexec_b64 s[0:1], vcc
; %bb.194:
	v_lshlrev_b32_e32 v7, 2, v2
	ds_write_b32 v7, v1
; %bb.195:
	s_or_b64 exec, exec, s[0:1]
	v_cmp_gt_u32_e32 vcc, 8, v0
	s_waitcnt lgkmcnt(0)
	s_barrier
	s_and_saveexec_b64 s[0:1], vcc
	s_cbranch_execz .LBB24_197
; %bb.196:
	ds_read_b32 v7, v9
	v_and_b32_e32 v23, 7, v5
	v_cmp_ne_u32_e32 vcc, 0, v23
	s_waitcnt lgkmcnt(0)
	v_mov_b32_dpp v56, v7 row_shr:1 row_mask:0xf bank_mask:0xf
	v_cndmask_b32_e32 v56, 0, v56, vcc
	v_add_u32_e32 v7, v56, v7
	v_cmp_lt_u32_e32 vcc, 1, v23
	s_nop 0
	v_mov_b32_dpp v56, v7 row_shr:2 row_mask:0xf bank_mask:0xf
	v_cndmask_b32_e32 v56, 0, v56, vcc
	v_add_u32_e32 v7, v7, v56
	v_cmp_lt_u32_e32 vcc, 3, v23
	s_nop 0
	v_mov_b32_dpp v56, v7 row_shr:4 row_mask:0xf bank_mask:0xf
	v_cndmask_b32_e32 v23, 0, v56, vcc
	v_add_u32_e32 v7, v7, v23
	ds_write_b32 v9, v7
.LBB24_197:
	s_or_b64 exec, exec, s[0:1]
	v_cmp_lt_u32_e32 vcc, 63, v0
	v_mov_b32_e32 v7, 0
	s_waitcnt lgkmcnt(0)
	s_barrier
	s_and_saveexec_b64 s[0:1], vcc
; %bb.198:
	v_lshl_add_u32 v2, v2, 2, -4
	ds_read_b32 v7, v2
; %bb.199:
	s_or_b64 exec, exec, s[0:1]
	v_add_u32_e32 v2, -1, v5
	v_and_b32_e32 v23, 64, v5
	v_cmp_lt_i32_e32 vcc, v2, v23
	v_cndmask_b32_e32 v2, v2, v5, vcc
	s_waitcnt lgkmcnt(0)
	v_add_u32_e32 v1, v7, v1
	v_lshlrev_b32_e32 v2, 2, v2
	ds_bpermute_b32 v1, v2, v1
	v_cmp_eq_u32_e32 vcc, 0, v5
	v_cmp_gt_u32_e64 s[0:1], 32, v0
	s_waitcnt lgkmcnt(0)
	v_cndmask_b32_e32 v1, v1, v7, vcc
	ds_write_b32 v9, v1 offset:32
	s_waitcnt lgkmcnt(0)
	s_barrier
	ds_read_b32 v60, v14 offset:32
	ds_read_b32 v59, v16 offset:32
	;; [unrolled: 1-line block ×12, first 2 shown]
	v_mov_b32_e32 v1, 0
	v_cmp_lt_u32_e32 vcc, 31, v0
	v_mov_b32_e32 v2, 0
                                        ; implicit-def: $vgpr14
	s_and_saveexec_b64 s[4:5], s[0:1]
	s_cbranch_execz .LBB24_203
; %bb.200:
	v_mul_u32_u24_e32 v1, 36, v0
	ds_read_b32 v1, v1 offset:32
	v_add_u32_e32 v14, 1, v0
	v_cmp_ne_u32_e64 s[2:3], 32, v14
	v_mov_b32_e32 v2, 0x1800
	s_and_saveexec_b64 s[10:11], s[2:3]
; %bb.201:
	v_mul_u32_u24_e32 v2, 36, v14
	ds_read_b32 v2, v2 offset:32
; %bb.202:
	s_or_b64 exec, exec, s[10:11]
	s_waitcnt lgkmcnt(0)
	v_sub_u32_e32 v14, v2, v1
	v_mov_b32_e32 v2, 0
.LBB24_203:
	s_or_b64 exec, exec, s[4:5]
	v_lshlrev_b32_e32 v8, 2, v8
	s_waitcnt lgkmcnt(11)
	v_lshl_add_u32 v16, v60, 2, v8
	s_waitcnt lgkmcnt(0)
	s_barrier
	ds_write_b32 v16, v6 offset:256
	v_lshlrev_b32_e32 v6, 2, v59
	v_lshlrev_b32_e32 v4, 2, v4
	;; [unrolled: 1-line block ×3, first 2 shown]
	v_add3_u32 v13, v6, v4, v8
	v_lshlrev_b32_e32 v4, 2, v58
	v_lshlrev_b32_e32 v6, 2, v19
	;; [unrolled: 1-line block ×3, first 2 shown]
	v_add3_u32 v17, v4, v6, v8
	v_lshlrev_b32_e32 v4, 2, v57
	v_lshlrev_b32_e32 v6, 2, v25
	v_lshlrev_b32_e32 v8, 2, v22
	ds_write_b32 v13, v12 offset:256
	ds_write_b32 v17, v15 offset:256
	v_add3_u32 v15, v4, v6, v8
	v_lshlrev_b32_e32 v4, 2, v56
	v_lshlrev_b32_e32 v6, 2, v30
	v_lshlrev_b32_e32 v8, 2, v28
	v_add3_u32 v18, v4, v6, v8
	v_lshlrev_b32_e32 v4, 2, v37
	v_lshlrev_b32_e32 v6, 2, v35
	v_lshlrev_b32_e32 v8, 2, v33
	;; [unrolled: 4-line block ×3, first 2 shown]
	ds_write_b32 v15, v20 offset:256
	v_add3_u32 v20, v4, v6, v8
	v_lshlrev_b32_e32 v4, 2, v21
	v_lshlrev_b32_e32 v6, 2, v43
	v_lshlrev_b32_e32 v8, 2, v41
	v_add3_u32 v21, v4, v6, v8
	v_lshlrev_b32_e32 v4, 2, v27
	v_lshlrev_b32_e32 v6, 2, v46
	v_lshlrev_b32_e32 v8, 2, v44
	;; [unrolled: 4-line block ×5, first 2 shown]
	v_add3_u32 v25, v4, v5, v6
	v_lshlrev_b32_e32 v12, 3, v0
	ds_write_b32 v18, v26 offset:256
	ds_write_b32 v19, v31 offset:256
	;; [unrolled: 1-line block ×8, first 2 shown]
	s_waitcnt lgkmcnt(0)
	s_barrier
	s_and_saveexec_b64 s[2:3], s[0:1]
	s_cbranch_execz .LBB24_213
; %bb.204:
	v_lshl_add_u32 v3, s6, 5, v0
	v_mov_b32_e32 v4, 0
	v_lshlrev_b64 v[5:6], 2, v[3:4]
	v_mov_b32_e32 v26, s73
	v_add_co_u32_e64 v5, s[0:1], s72, v5
	v_addc_co_u32_e64 v6, s[0:1], v26, v6, s[0:1]
	v_or_b32_e32 v3, 2.0, v14
	s_mov_b64 s[4:5], 0
	s_brev_b32 s15, -4
	s_mov_b32 s16, s6
	v_mov_b32_e32 v27, 0
	global_store_dword v[5:6], v3, off
                                        ; implicit-def: $sgpr0_sgpr1
	s_branch .LBB24_207
.LBB24_205:                             ;   in Loop: Header=BB24_207 Depth=1
	s_or_b64 exec, exec, s[12:13]
.LBB24_206:                             ;   in Loop: Header=BB24_207 Depth=1
	s_or_b64 exec, exec, s[10:11]
	v_and_b32_e32 v7, 0x3fffffff, v3
	v_add_u32_e32 v27, v7, v27
	v_cmp_gt_i32_e64 s[0:1], -2.0, v3
	s_and_b64 s[10:11], exec, s[0:1]
	s_or_b64 s[4:5], s[10:11], s[4:5]
	s_andn2_b64 exec, exec, s[4:5]
	s_cbranch_execz .LBB24_212
.LBB24_207:                             ; =>This Loop Header: Depth=1
                                        ;     Child Loop BB24_210 Depth 2
	s_or_b64 s[0:1], s[0:1], exec
	s_cmp_eq_u32 s16, 0
	s_cbranch_scc1 .LBB24_211
; %bb.208:                              ;   in Loop: Header=BB24_207 Depth=1
	s_add_i32 s16, s16, -1
	v_lshl_or_b32 v3, s16, 5, v0
	v_lshlrev_b64 v[7:8], 2, v[3:4]
	v_add_co_u32_e64 v7, s[0:1], s72, v7
	v_addc_co_u32_e64 v8, s[0:1], v26, v8, s[0:1]
	global_load_dword v3, v[7:8], off glc
	s_waitcnt vmcnt(0)
	v_cmp_gt_u32_e64 s[0:1], 2.0, v3
	s_and_saveexec_b64 s[10:11], s[0:1]
	s_cbranch_execz .LBB24_206
; %bb.209:                              ;   in Loop: Header=BB24_207 Depth=1
	s_mov_b64 s[12:13], 0
.LBB24_210:                             ;   Parent Loop BB24_207 Depth=1
                                        ; =>  This Inner Loop Header: Depth=2
	global_load_dword v3, v[7:8], off glc
	s_waitcnt vmcnt(0)
	v_cmp_lt_u32_e64 s[0:1], s15, v3
	s_or_b64 s[12:13], s[0:1], s[12:13]
	s_andn2_b64 exec, exec, s[12:13]
	s_cbranch_execnz .LBB24_210
	s_branch .LBB24_205
.LBB24_211:                             ;   in Loop: Header=BB24_207 Depth=1
                                        ; implicit-def: $sgpr16
	s_and_b64 s[10:11], exec, s[0:1]
	s_or_b64 s[4:5], s[10:11], s[4:5]
	s_andn2_b64 exec, exec, s[4:5]
	s_cbranch_execnz .LBB24_207
.LBB24_212:
	s_or_b64 exec, exec, s[4:5]
	v_add_u32_e32 v0, v27, v14
	v_or_b32_e32 v0, 0x80000000, v0
	global_store_dword v[5:6], v0, off
	global_load_dwordx2 v[3:4], v12, s[64:65]
	v_sub_co_u32_e64 v0, s[0:1], v27, v1
	v_subb_co_u32_e64 v5, s[0:1], 0, v2, s[0:1]
	s_waitcnt vmcnt(0)
	v_add_co_u32_e64 v3, s[0:1], v0, v3
	v_addc_co_u32_e64 v4, s[0:1], v5, v4, s[0:1]
	ds_write_b64 v12, v[3:4]
.LBB24_213:
	s_or_b64 exec, exec, s[2:3]
	v_sub_u32_e32 v0, v12, v9
	s_waitcnt lgkmcnt(0)
	s_barrier
	ds_read2st64_b32 v[6:7], v0 offset0:1 offset1:9
	v_mov_b32_e32 v36, s59
	v_mov_b32_e32 v50, s59
	s_waitcnt lgkmcnt(0)
	v_lshrrev_b32_e32 v3, s68, v6
	v_and_b32_e32 v3, s14, v3
	v_lshlrev_b32_e32 v3, 3, v3
	ds_read2st64_b32 v[26:27], v0 offset0:17 offset1:25
	ds_read_b64 v[28:29], v3
	v_lshrrev_b32_e32 v4, s68, v7
	v_and_b32_e32 v4, s14, v4
	v_xor_b32_e32 v8, 0x80000000, v6
	v_lshlrev_b32_e32 v6, 3, v4
	s_waitcnt lgkmcnt(0)
	v_lshlrev_b64 v[28:29], 2, v[28:29]
	v_lshrrev_b32_e32 v4, s68, v26
	v_lshrrev_b32_e32 v5, s68, v27
	v_and_b32_e32 v4, s14, v4
	v_and_b32_e32 v5, s14, v5
	v_add_co_u32_e64 v28, s[0:1], s58, v28
	v_lshlrev_b32_e32 v4, 3, v4
	v_lshlrev_b32_e32 v5, 3, v5
	ds_read_b64 v[30:31], v6
	ds_read_b64 v[32:33], v4
	;; [unrolled: 1-line block ×3, first 2 shown]
	v_addc_co_u32_e64 v29, s[0:1], v36, v29, s[0:1]
	v_add_co_u32_e64 v28, s[0:1], v28, v9
	v_addc_co_u32_e64 v29, s[0:1], 0, v29, s[0:1]
	global_store_dword v[28:29], v8, off
	v_xor_b32_e32 v28, 0x80000000, v7
	s_waitcnt lgkmcnt(2)
	v_lshlrev_b64 v[7:8], 2, v[30:31]
	v_mov_b32_e32 v29, s59
	v_add_co_u32_e64 v7, s[0:1], s58, v7
	v_addc_co_u32_e64 v8, s[0:1], v29, v8, s[0:1]
	v_add_co_u32_e64 v7, s[0:1], v7, v9
	v_addc_co_u32_e64 v8, s[0:1], 0, v8, s[0:1]
	global_store_dword v[7:8], v28, off offset:2048
	s_waitcnt lgkmcnt(1)
	v_lshlrev_b64 v[7:8], 2, v[32:33]
	v_mov_b32_e32 v28, s59
	v_add_co_u32_e64 v29, s[0:1], s58, v7
	v_addc_co_u32_e64 v8, s[0:1], v28, v8, s[0:1]
	v_or_b32_e32 v7, 0x1000, v9
	v_add_co_u32_e64 v28, s[0:1], v29, v7
	v_xor_b32_e32 v26, 0x80000000, v26
	v_addc_co_u32_e64 v29, s[0:1], 0, v8, s[0:1]
	global_store_dword v[28:29], v26, off
	v_xor_b32_e32 v28, 0x80000000, v27
	s_waitcnt lgkmcnt(0)
	v_lshlrev_b64 v[26:27], 2, v[34:35]
	ds_read2st64_b32 v[30:31], v0 offset0:33 offset1:41
	v_mov_b32_e32 v8, s59
	v_add_co_u32_e64 v26, s[0:1], s58, v26
	v_addc_co_u32_e64 v27, s[0:1], v8, v27, s[0:1]
	v_or_b32_e32 v8, 0x1800, v9
	v_add_co_u32_e64 v26, s[0:1], v26, v8
	v_addc_co_u32_e64 v27, s[0:1], 0, v27, s[0:1]
	global_store_dword v[26:27], v28, off
	s_waitcnt lgkmcnt(0)
	v_lshrrev_b32_e32 v26, s68, v30
	v_and_b32_e32 v26, s14, v26
	v_lshlrev_b32_e32 v26, 3, v26
	ds_read2st64_b32 v[32:33], v0 offset0:49 offset1:57
	ds_read_b64 v[34:35], v26
	v_lshrrev_b32_e32 v27, s68, v31
	v_and_b32_e32 v27, s14, v27
	v_lshlrev_b32_e32 v29, 3, v27
	s_waitcnt lgkmcnt(1)
	v_lshrrev_b32_e32 v27, s68, v32
	s_waitcnt lgkmcnt(0)
	v_lshlrev_b64 v[34:35], 2, v[34:35]
	v_lshrrev_b32_e32 v28, s68, v33
	v_xor_b32_e32 v42, 0x80000000, v30
	v_and_b32_e32 v27, s14, v27
	v_and_b32_e32 v28, s14, v28
	v_mov_b32_e32 v30, s59
	v_add_co_u32_e64 v34, s[0:1], s58, v34
	v_lshlrev_b32_e32 v27, 3, v27
	v_lshlrev_b32_e32 v28, 3, v28
	ds_read_b64 v[36:37], v29
	ds_read_b64 v[38:39], v27
	;; [unrolled: 1-line block ×3, first 2 shown]
	v_addc_co_u32_e64 v35, s[0:1], v30, v35, s[0:1]
	v_or_b32_e32 v30, 0x2000, v9
	v_add_co_u32_e64 v34, s[0:1], v34, v30
	v_addc_co_u32_e64 v35, s[0:1], 0, v35, s[0:1]
	global_store_dword v[34:35], v42, off
	s_waitcnt lgkmcnt(2)
	v_lshlrev_b64 v[34:35], 2, v[36:37]
	v_xor_b32_e32 v42, 0x80000000, v31
	v_mov_b32_e32 v31, s59
	v_add_co_u32_e64 v34, s[0:1], s58, v34
	v_addc_co_u32_e64 v35, s[0:1], v31, v35, s[0:1]
	v_or_b32_e32 v31, 0x2800, v9
	v_add_co_u32_e64 v34, s[0:1], v34, v31
	v_addc_co_u32_e64 v35, s[0:1], 0, v35, s[0:1]
	global_store_dword v[34:35], v42, off
	s_waitcnt lgkmcnt(1)
	v_lshlrev_b64 v[34:35], 2, v[38:39]
	v_xor_b32_e32 v36, 0x80000000, v32
	v_mov_b32_e32 v32, s59
	v_add_co_u32_e64 v34, s[0:1], s58, v34
	v_addc_co_u32_e64 v35, s[0:1], v32, v35, s[0:1]
	v_or_b32_e32 v32, 0x3000, v9
	v_add_co_u32_e64 v34, s[0:1], v34, v32
	v_addc_co_u32_e64 v35, s[0:1], 0, v35, s[0:1]
	global_store_dword v[34:35], v36, off
	v_xor_b32_e32 v38, 0x80000000, v33
	s_waitcnt lgkmcnt(0)
	v_lshlrev_b64 v[33:34], 2, v[40:41]
	v_mov_b32_e32 v35, s59
	v_add_co_u32_e64 v36, s[0:1], s58, v33
	v_addc_co_u32_e64 v37, s[0:1], v35, v34, s[0:1]
	ds_read2st64_b32 v[34:35], v0 offset0:65 offset1:73
	v_or_b32_e32 v33, 0x3800, v9
	v_add_co_u32_e64 v36, s[0:1], v36, v33
	v_addc_co_u32_e64 v37, s[0:1], 0, v37, s[0:1]
	global_store_dword v[36:37], v38, off
	s_waitcnt lgkmcnt(0)
	v_lshrrev_b32_e32 v36, s68, v34
	v_and_b32_e32 v36, s14, v36
	v_xor_b32_e32 v46, 0x80000000, v34
	v_lshlrev_b32_e32 v34, 3, v36
	ds_read2st64_b32 v[36:37], v0 offset0:81 offset1:89
	ds_read_b64 v[38:39], v34
	v_lshrrev_b32_e32 v40, s68, v35
	v_and_b32_e32 v40, s14, v40
	v_lshlrev_b32_e32 v47, 3, v40
	s_waitcnt lgkmcnt(1)
	v_lshrrev_b32_e32 v40, s68, v36
	v_and_b32_e32 v40, s14, v40
	s_waitcnt lgkmcnt(0)
	v_lshlrev_b64 v[38:39], 2, v[38:39]
	v_lshlrev_b32_e32 v48, 3, v40
	v_lshrrev_b32_e32 v40, s68, v37
	v_and_b32_e32 v40, s14, v40
	v_add_co_u32_e64 v38, s[0:1], s58, v38
	v_lshlrev_b32_e32 v49, 3, v40
	ds_read_b64 v[40:41], v47
	ds_read_b64 v[42:43], v48
	;; [unrolled: 1-line block ×3, first 2 shown]
	v_addc_co_u32_e64 v39, s[0:1], v50, v39, s[0:1]
	v_or_b32_e32 v50, 0x4000, v9
	v_add_co_u32_e64 v38, s[0:1], v38, v50
	v_addc_co_u32_e64 v39, s[0:1], 0, v39, s[0:1]
	global_store_dword v[38:39], v46, off
	s_waitcnt lgkmcnt(2)
	v_lshlrev_b64 v[38:39], 2, v[40:41]
	v_mov_b32_e32 v40, s59
	v_add_co_u32_e64 v38, s[0:1], s58, v38
	v_addc_co_u32_e64 v39, s[0:1], v40, v39, s[0:1]
	v_or_b32_e32 v40, 0x4800, v9
	v_add_co_u32_e64 v38, s[0:1], v38, v40
	v_xor_b32_e32 v35, 0x80000000, v35
	v_addc_co_u32_e64 v39, s[0:1], 0, v39, s[0:1]
	global_store_dword v[38:39], v35, off
	v_xor_b32_e32 v38, 0x80000000, v36
	s_waitcnt lgkmcnt(1)
	v_lshlrev_b64 v[35:36], 2, v[42:43]
	v_mov_b32_e32 v39, s59
	v_add_co_u32_e64 v35, s[0:1], s58, v35
	v_addc_co_u32_e64 v36, s[0:1], v39, v36, s[0:1]
	v_or_b32_e32 v39, 0x5000, v9
	v_add_co_u32_e64 v35, s[0:1], v35, v39
	v_addc_co_u32_e64 v36, s[0:1], 0, v36, s[0:1]
	global_store_dword v[35:36], v38, off
	s_waitcnt lgkmcnt(0)
	v_lshlrev_b64 v[35:36], 2, v[44:45]
	v_mov_b32_e32 v38, s59
	v_add_co_u32_e64 v35, s[0:1], s58, v35
	v_addc_co_u32_e64 v36, s[0:1], v38, v36, s[0:1]
	v_or_b32_e32 v38, 0x5800, v9
	v_add_co_u32_e64 v35, s[0:1], v35, v38
	v_addc_co_u32_e64 v36, s[0:1], 0, v36, s[0:1]
	s_add_u32 s0, s60, s8
	v_xor_b32_e32 v37, 0x80000000, v37
	s_addc_u32 s1, s61, s9
	global_store_dword v[35:36], v37, off
	v_mov_b32_e32 v35, s1
	v_add_co_u32_e64 v10, s[0:1], s0, v10
	v_addc_co_u32_e64 v35, s[0:1], 0, v35, s[0:1]
	v_add_co_u32_e64 v10, s[0:1], v10, v11
	v_addc_co_u32_e64 v11, s[0:1], 0, v35, s[0:1]
	global_load_dword v35, v[10:11], off
	global_load_dword v36, v[10:11], off offset:256
	global_load_dword v37, v[10:11], off offset:512
	;; [unrolled: 1-line block ×11, first 2 shown]
	s_waitcnt vmcnt(0)
	s_barrier
	ds_write_b32 v16, v35 offset:256
	ds_write_b32 v13, v36 offset:256
	;; [unrolled: 1-line block ×12, first 2 shown]
	s_waitcnt lgkmcnt(0)
	s_barrier
	ds_read_b64 v[10:11], v3
	ds_read2st64_b32 v[15:16], v0 offset0:1 offset1:9
	ds_read_b64 v[17:18], v6
	ds_read_b64 v[3:4], v4
	;; [unrolled: 1-line block ×3, first 2 shown]
	s_waitcnt lgkmcnt(4)
	v_lshlrev_b64 v[10:11], 2, v[10:11]
	v_mov_b32_e32 v13, s63
	v_add_co_u32_e64 v10, s[0:1], s62, v10
	v_addc_co_u32_e64 v11, s[0:1], v13, v11, s[0:1]
	v_add_co_u32_e64 v10, s[0:1], v10, v9
	v_addc_co_u32_e64 v11, s[0:1], 0, v11, s[0:1]
	s_waitcnt lgkmcnt(3)
	global_store_dword v[10:11], v15, off
	s_waitcnt lgkmcnt(2)
	v_lshlrev_b64 v[10:11], 2, v[17:18]
	s_waitcnt lgkmcnt(1)
	v_lshlrev_b64 v[3:4], 2, v[3:4]
	v_add_co_u32_e64 v10, s[0:1], s62, v10
	v_addc_co_u32_e64 v11, s[0:1], v13, v11, s[0:1]
	v_add_co_u32_e64 v9, s[0:1], v10, v9
	v_addc_co_u32_e64 v10, s[0:1], 0, v11, s[0:1]
	global_store_dword v[9:10], v16, off offset:2048
	ds_read2st64_b32 v[9:10], v0 offset0:17 offset1:25
	v_mov_b32_e32 v11, s63
	v_add_co_u32_e64 v3, s[0:1], s62, v3
	v_addc_co_u32_e64 v4, s[0:1], v11, v4, s[0:1]
	v_add_co_u32_e64 v3, s[0:1], v3, v7
	v_addc_co_u32_e64 v4, s[0:1], 0, v4, s[0:1]
	s_waitcnt lgkmcnt(0)
	global_store_dword v[3:4], v9, off
	v_lshlrev_b64 v[3:4], 2, v[5:6]
	v_mov_b32_e32 v5, s63
	v_add_co_u32_e64 v3, s[0:1], s62, v3
	v_addc_co_u32_e64 v4, s[0:1], v5, v4, s[0:1]
	v_add_co_u32_e64 v3, s[0:1], v3, v8
	v_addc_co_u32_e64 v4, s[0:1], 0, v4, s[0:1]
	global_store_dword v[3:4], v10, off
	ds_read_b64 v[3:4], v26
	ds_read2st64_b32 v[5:6], v0 offset0:33 offset1:41
	ds_read_b64 v[7:8], v29
	ds_read_b64 v[9:10], v27
	;; [unrolled: 1-line block ×3, first 2 shown]
	s_waitcnt lgkmcnt(4)
	v_lshlrev_b64 v[3:4], 2, v[3:4]
	s_add_i32 s7, s7, -1
	v_add_co_u32_e64 v3, s[0:1], s62, v3
	v_addc_co_u32_e64 v4, s[0:1], v11, v4, s[0:1]
	v_add_co_u32_e64 v3, s[0:1], v3, v30
	v_addc_co_u32_e64 v4, s[0:1], 0, v4, s[0:1]
	s_waitcnt lgkmcnt(3)
	global_store_dword v[3:4], v5, off
	s_waitcnt lgkmcnt(2)
	v_lshlrev_b64 v[3:4], 2, v[7:8]
	v_mov_b32_e32 v5, s63
	v_add_co_u32_e64 v3, s[0:1], s62, v3
	v_addc_co_u32_e64 v4, s[0:1], v5, v4, s[0:1]
	v_add_co_u32_e64 v3, s[0:1], v3, v31
	v_addc_co_u32_e64 v4, s[0:1], 0, v4, s[0:1]
	global_store_dword v[3:4], v6, off
	s_waitcnt lgkmcnt(1)
	v_lshlrev_b64 v[5:6], 2, v[9:10]
	ds_read2st64_b32 v[3:4], v0 offset0:49 offset1:57
	v_mov_b32_e32 v7, s63
	v_add_co_u32_e64 v5, s[0:1], s62, v5
	v_addc_co_u32_e64 v6, s[0:1], v7, v6, s[0:1]
	v_add_co_u32_e64 v5, s[0:1], v5, v32
	v_addc_co_u32_e64 v6, s[0:1], 0, v6, s[0:1]
	s_waitcnt lgkmcnt(0)
	global_store_dword v[5:6], v3, off
	v_lshlrev_b64 v[5:6], 2, v[15:16]
	v_mov_b32_e32 v3, s63
	v_add_co_u32_e64 v5, s[0:1], s62, v5
	v_addc_co_u32_e64 v3, s[0:1], v3, v6, s[0:1]
	v_add_co_u32_e64 v5, s[0:1], v5, v33
	v_addc_co_u32_e64 v6, s[0:1], 0, v3, s[0:1]
	global_store_dword v[5:6], v4, off
	ds_read_b64 v[3:4], v34
	ds_read2st64_b32 v[5:6], v0 offset0:65 offset1:73
	ds_read_b64 v[7:8], v47
	ds_read_b64 v[9:10], v48
	;; [unrolled: 1-line block ×3, first 2 shown]
	s_waitcnt lgkmcnt(4)
	v_lshlrev_b64 v[3:4], 2, v[3:4]
	s_cmp_eq_u32 s6, s7
	v_add_co_u32_e64 v3, s[0:1], s62, v3
	v_addc_co_u32_e64 v4, s[0:1], v11, v4, s[0:1]
	v_add_co_u32_e64 v3, s[0:1], v3, v50
	v_addc_co_u32_e64 v4, s[0:1], 0, v4, s[0:1]
	s_waitcnt lgkmcnt(3)
	global_store_dword v[3:4], v5, off
	s_waitcnt lgkmcnt(2)
	v_lshlrev_b64 v[3:4], 2, v[7:8]
	v_mov_b32_e32 v5, s63
	v_add_co_u32_e64 v3, s[0:1], s62, v3
	v_addc_co_u32_e64 v4, s[0:1], v5, v4, s[0:1]
	v_add_co_u32_e64 v3, s[0:1], v3, v40
	v_addc_co_u32_e64 v4, s[0:1], 0, v4, s[0:1]
	global_store_dword v[3:4], v6, off
	s_waitcnt lgkmcnt(1)
	v_lshlrev_b64 v[5:6], 2, v[9:10]
	ds_read2st64_b32 v[3:4], v0 offset0:81 offset1:89
	v_mov_b32_e32 v0, s63
	v_add_co_u32_e64 v5, s[0:1], s62, v5
	v_addc_co_u32_e64 v0, s[0:1], v0, v6, s[0:1]
	v_add_co_u32_e64 v5, s[0:1], v5, v39
	v_addc_co_u32_e64 v6, s[0:1], 0, v0, s[0:1]
	s_waitcnt lgkmcnt(0)
	global_store_dword v[5:6], v3, off
	v_lshlrev_b64 v[5:6], 2, v[15:16]
	v_mov_b32_e32 v0, s63
	v_add_co_u32_e64 v3, s[0:1], s62, v5
	v_addc_co_u32_e64 v0, s[0:1], v0, v6, s[0:1]
	v_add_co_u32_e64 v5, s[0:1], v3, v38
	v_addc_co_u32_e64 v6, s[0:1], 0, v0, s[0:1]
	s_cselect_b64 s[0:1], -1, 0
	s_xor_b64 s[2:3], vcc, -1
	s_and_b64 s[0:1], s[2:3], s[0:1]
	global_store_dword v[5:6], v4, off
	s_and_saveexec_b64 s[2:3], s[0:1]
	s_cbranch_execz .LBB24_215
; %bb.214:
	ds_read_b64 v[3:4], v12
	v_add_co_u32_e32 v0, vcc, v1, v14
	v_addc_co_u32_e32 v1, vcc, 0, v2, vcc
	s_waitcnt lgkmcnt(0)
	v_add_co_u32_e32 v0, vcc, v0, v3
	v_addc_co_u32_e32 v1, vcc, v1, v4, vcc
	global_store_dwordx2 v12, v[0:1], s[66:67]
.LBB24_215:
	s_endpgm
	.section	.rodata,"a",@progbits
	.p2align	6, 0x0
	.amdhsa_kernel _ZN7rocprim17ROCPRIM_304000_NS6detail25onesweep_iteration_kernelINS1_34wrapped_radix_sort_onesweep_configINS0_14default_configEiN2at4cuda3cub6detail10OpaqueTypeILi4EEEEELb0EPKiPiPKSA_PSA_mNS0_19identity_decomposerEEEvT1_T2_T3_T4_jPT5_SO_PNS1_23onesweep_lookback_stateET6_jjj
		.amdhsa_group_segment_fixed_size 24832
		.amdhsa_private_segment_fixed_size 0
		.amdhsa_kernarg_size 336
		.amdhsa_user_sgpr_count 6
		.amdhsa_user_sgpr_private_segment_buffer 1
		.amdhsa_user_sgpr_dispatch_ptr 0
		.amdhsa_user_sgpr_queue_ptr 0
		.amdhsa_user_sgpr_kernarg_segment_ptr 1
		.amdhsa_user_sgpr_dispatch_id 0
		.amdhsa_user_sgpr_flat_scratch_init 0
		.amdhsa_user_sgpr_private_segment_size 0
		.amdhsa_uses_dynamic_stack 0
		.amdhsa_system_sgpr_private_segment_wavefront_offset 0
		.amdhsa_system_sgpr_workgroup_id_x 1
		.amdhsa_system_sgpr_workgroup_id_y 0
		.amdhsa_system_sgpr_workgroup_id_z 0
		.amdhsa_system_sgpr_workgroup_info 0
		.amdhsa_system_vgpr_workitem_id 2
		.amdhsa_next_free_vgpr 63
		.amdhsa_next_free_sgpr 98
		.amdhsa_reserve_vcc 1
		.amdhsa_reserve_flat_scratch 0
		.amdhsa_float_round_mode_32 0
		.amdhsa_float_round_mode_16_64 0
		.amdhsa_float_denorm_mode_32 3
		.amdhsa_float_denorm_mode_16_64 3
		.amdhsa_dx10_clamp 1
		.amdhsa_ieee_mode 1
		.amdhsa_fp16_overflow 0
		.amdhsa_exception_fp_ieee_invalid_op 0
		.amdhsa_exception_fp_denorm_src 0
		.amdhsa_exception_fp_ieee_div_zero 0
		.amdhsa_exception_fp_ieee_overflow 0
		.amdhsa_exception_fp_ieee_underflow 0
		.amdhsa_exception_fp_ieee_inexact 0
		.amdhsa_exception_int_div_zero 0
	.end_amdhsa_kernel
	.section	.text._ZN7rocprim17ROCPRIM_304000_NS6detail25onesweep_iteration_kernelINS1_34wrapped_radix_sort_onesweep_configINS0_14default_configEiN2at4cuda3cub6detail10OpaqueTypeILi4EEEEELb0EPKiPiPKSA_PSA_mNS0_19identity_decomposerEEEvT1_T2_T3_T4_jPT5_SO_PNS1_23onesweep_lookback_stateET6_jjj,"axG",@progbits,_ZN7rocprim17ROCPRIM_304000_NS6detail25onesweep_iteration_kernelINS1_34wrapped_radix_sort_onesweep_configINS0_14default_configEiN2at4cuda3cub6detail10OpaqueTypeILi4EEEEELb0EPKiPiPKSA_PSA_mNS0_19identity_decomposerEEEvT1_T2_T3_T4_jPT5_SO_PNS1_23onesweep_lookback_stateET6_jjj,comdat
.Lfunc_end24:
	.size	_ZN7rocprim17ROCPRIM_304000_NS6detail25onesweep_iteration_kernelINS1_34wrapped_radix_sort_onesweep_configINS0_14default_configEiN2at4cuda3cub6detail10OpaqueTypeILi4EEEEELb0EPKiPiPKSA_PSA_mNS0_19identity_decomposerEEEvT1_T2_T3_T4_jPT5_SO_PNS1_23onesweep_lookback_stateET6_jjj, .Lfunc_end24-_ZN7rocprim17ROCPRIM_304000_NS6detail25onesweep_iteration_kernelINS1_34wrapped_radix_sort_onesweep_configINS0_14default_configEiN2at4cuda3cub6detail10OpaqueTypeILi4EEEEELb0EPKiPiPKSA_PSA_mNS0_19identity_decomposerEEEvT1_T2_T3_T4_jPT5_SO_PNS1_23onesweep_lookback_stateET6_jjj
                                        ; -- End function
	.set _ZN7rocprim17ROCPRIM_304000_NS6detail25onesweep_iteration_kernelINS1_34wrapped_radix_sort_onesweep_configINS0_14default_configEiN2at4cuda3cub6detail10OpaqueTypeILi4EEEEELb0EPKiPiPKSA_PSA_mNS0_19identity_decomposerEEEvT1_T2_T3_T4_jPT5_SO_PNS1_23onesweep_lookback_stateET6_jjj.num_vgpr, 63
	.set _ZN7rocprim17ROCPRIM_304000_NS6detail25onesweep_iteration_kernelINS1_34wrapped_radix_sort_onesweep_configINS0_14default_configEiN2at4cuda3cub6detail10OpaqueTypeILi4EEEEELb0EPKiPiPKSA_PSA_mNS0_19identity_decomposerEEEvT1_T2_T3_T4_jPT5_SO_PNS1_23onesweep_lookback_stateET6_jjj.num_agpr, 0
	.set _ZN7rocprim17ROCPRIM_304000_NS6detail25onesweep_iteration_kernelINS1_34wrapped_radix_sort_onesweep_configINS0_14default_configEiN2at4cuda3cub6detail10OpaqueTypeILi4EEEEELb0EPKiPiPKSA_PSA_mNS0_19identity_decomposerEEEvT1_T2_T3_T4_jPT5_SO_PNS1_23onesweep_lookback_stateET6_jjj.numbered_sgpr, 78
	.set _ZN7rocprim17ROCPRIM_304000_NS6detail25onesweep_iteration_kernelINS1_34wrapped_radix_sort_onesweep_configINS0_14default_configEiN2at4cuda3cub6detail10OpaqueTypeILi4EEEEELb0EPKiPiPKSA_PSA_mNS0_19identity_decomposerEEEvT1_T2_T3_T4_jPT5_SO_PNS1_23onesweep_lookback_stateET6_jjj.num_named_barrier, 0
	.set _ZN7rocprim17ROCPRIM_304000_NS6detail25onesweep_iteration_kernelINS1_34wrapped_radix_sort_onesweep_configINS0_14default_configEiN2at4cuda3cub6detail10OpaqueTypeILi4EEEEELb0EPKiPiPKSA_PSA_mNS0_19identity_decomposerEEEvT1_T2_T3_T4_jPT5_SO_PNS1_23onesweep_lookback_stateET6_jjj.private_seg_size, 0
	.set _ZN7rocprim17ROCPRIM_304000_NS6detail25onesweep_iteration_kernelINS1_34wrapped_radix_sort_onesweep_configINS0_14default_configEiN2at4cuda3cub6detail10OpaqueTypeILi4EEEEELb0EPKiPiPKSA_PSA_mNS0_19identity_decomposerEEEvT1_T2_T3_T4_jPT5_SO_PNS1_23onesweep_lookback_stateET6_jjj.uses_vcc, 1
	.set _ZN7rocprim17ROCPRIM_304000_NS6detail25onesweep_iteration_kernelINS1_34wrapped_radix_sort_onesweep_configINS0_14default_configEiN2at4cuda3cub6detail10OpaqueTypeILi4EEEEELb0EPKiPiPKSA_PSA_mNS0_19identity_decomposerEEEvT1_T2_T3_T4_jPT5_SO_PNS1_23onesweep_lookback_stateET6_jjj.uses_flat_scratch, 0
	.set _ZN7rocprim17ROCPRIM_304000_NS6detail25onesweep_iteration_kernelINS1_34wrapped_radix_sort_onesweep_configINS0_14default_configEiN2at4cuda3cub6detail10OpaqueTypeILi4EEEEELb0EPKiPiPKSA_PSA_mNS0_19identity_decomposerEEEvT1_T2_T3_T4_jPT5_SO_PNS1_23onesweep_lookback_stateET6_jjj.has_dyn_sized_stack, 0
	.set _ZN7rocprim17ROCPRIM_304000_NS6detail25onesweep_iteration_kernelINS1_34wrapped_radix_sort_onesweep_configINS0_14default_configEiN2at4cuda3cub6detail10OpaqueTypeILi4EEEEELb0EPKiPiPKSA_PSA_mNS0_19identity_decomposerEEEvT1_T2_T3_T4_jPT5_SO_PNS1_23onesweep_lookback_stateET6_jjj.has_recursion, 0
	.set _ZN7rocprim17ROCPRIM_304000_NS6detail25onesweep_iteration_kernelINS1_34wrapped_radix_sort_onesweep_configINS0_14default_configEiN2at4cuda3cub6detail10OpaqueTypeILi4EEEEELb0EPKiPiPKSA_PSA_mNS0_19identity_decomposerEEEvT1_T2_T3_T4_jPT5_SO_PNS1_23onesweep_lookback_stateET6_jjj.has_indirect_call, 0
	.section	.AMDGPU.csdata,"",@progbits
; Kernel info:
; codeLenInByte = 16784
; TotalNumSgprs: 82
; NumVgprs: 63
; ScratchSize: 0
; MemoryBound: 0
; FloatMode: 240
; IeeeMode: 1
; LDSByteSize: 24832 bytes/workgroup (compile time only)
; SGPRBlocks: 12
; VGPRBlocks: 15
; NumSGPRsForWavesPerEU: 102
; NumVGPRsForWavesPerEU: 63
; Occupancy: 4
; WaveLimiterHint : 1
; COMPUTE_PGM_RSRC2:SCRATCH_EN: 0
; COMPUTE_PGM_RSRC2:USER_SGPR: 6
; COMPUTE_PGM_RSRC2:TRAP_HANDLER: 0
; COMPUTE_PGM_RSRC2:TGID_X_EN: 1
; COMPUTE_PGM_RSRC2:TGID_Y_EN: 0
; COMPUTE_PGM_RSRC2:TGID_Z_EN: 0
; COMPUTE_PGM_RSRC2:TIDIG_COMP_CNT: 2
	.section	.text._ZN7rocprim17ROCPRIM_304000_NS6detail25onesweep_iteration_kernelINS1_34wrapped_radix_sort_onesweep_configINS0_14default_configEiN2at4cuda3cub6detail10OpaqueTypeILi4EEEEELb0EPiSC_PSA_SD_mNS0_19identity_decomposerEEEvT1_T2_T3_T4_jPT5_SK_PNS1_23onesweep_lookback_stateET6_jjj,"axG",@progbits,_ZN7rocprim17ROCPRIM_304000_NS6detail25onesweep_iteration_kernelINS1_34wrapped_radix_sort_onesweep_configINS0_14default_configEiN2at4cuda3cub6detail10OpaqueTypeILi4EEEEELb0EPiSC_PSA_SD_mNS0_19identity_decomposerEEEvT1_T2_T3_T4_jPT5_SK_PNS1_23onesweep_lookback_stateET6_jjj,comdat
	.protected	_ZN7rocprim17ROCPRIM_304000_NS6detail25onesweep_iteration_kernelINS1_34wrapped_radix_sort_onesweep_configINS0_14default_configEiN2at4cuda3cub6detail10OpaqueTypeILi4EEEEELb0EPiSC_PSA_SD_mNS0_19identity_decomposerEEEvT1_T2_T3_T4_jPT5_SK_PNS1_23onesweep_lookback_stateET6_jjj ; -- Begin function _ZN7rocprim17ROCPRIM_304000_NS6detail25onesweep_iteration_kernelINS1_34wrapped_radix_sort_onesweep_configINS0_14default_configEiN2at4cuda3cub6detail10OpaqueTypeILi4EEEEELb0EPiSC_PSA_SD_mNS0_19identity_decomposerEEEvT1_T2_T3_T4_jPT5_SK_PNS1_23onesweep_lookback_stateET6_jjj
	.globl	_ZN7rocprim17ROCPRIM_304000_NS6detail25onesweep_iteration_kernelINS1_34wrapped_radix_sort_onesweep_configINS0_14default_configEiN2at4cuda3cub6detail10OpaqueTypeILi4EEEEELb0EPiSC_PSA_SD_mNS0_19identity_decomposerEEEvT1_T2_T3_T4_jPT5_SK_PNS1_23onesweep_lookback_stateET6_jjj
	.p2align	8
	.type	_ZN7rocprim17ROCPRIM_304000_NS6detail25onesweep_iteration_kernelINS1_34wrapped_radix_sort_onesweep_configINS0_14default_configEiN2at4cuda3cub6detail10OpaqueTypeILi4EEEEELb0EPiSC_PSA_SD_mNS0_19identity_decomposerEEEvT1_T2_T3_T4_jPT5_SK_PNS1_23onesweep_lookback_stateET6_jjj,@function
_ZN7rocprim17ROCPRIM_304000_NS6detail25onesweep_iteration_kernelINS1_34wrapped_radix_sort_onesweep_configINS0_14default_configEiN2at4cuda3cub6detail10OpaqueTypeILi4EEEEELb0EPiSC_PSA_SD_mNS0_19identity_decomposerEEEvT1_T2_T3_T4_jPT5_SK_PNS1_23onesweep_lookback_stateET6_jjj: ; @_ZN7rocprim17ROCPRIM_304000_NS6detail25onesweep_iteration_kernelINS1_34wrapped_radix_sort_onesweep_configINS0_14default_configEiN2at4cuda3cub6detail10OpaqueTypeILi4EEEEELb0EPiSC_PSA_SD_mNS0_19identity_decomposerEEEvT1_T2_T3_T4_jPT5_SK_PNS1_23onesweep_lookback_stateET6_jjj
; %bb.0:
	s_load_dwordx4 s[68:71], s[4:5], 0x44
	s_load_dwordx8 s[56:63], s[4:5], 0x0
	s_load_dwordx4 s[64:67], s[4:5], 0x28
	s_load_dwordx2 s[72:73], s[4:5], 0x38
	s_mov_b64 s[0:1], -1
	s_waitcnt lgkmcnt(0)
	s_cmp_ge_u32 s6, s70
	s_mul_i32 s74, s6, 0x1800
	v_mbcnt_lo_u32_b32 v11, -1, 0
	s_cbranch_scc0 .LBB25_168
; %bb.1:
	s_load_dword s0, s[4:5], 0x20
	s_mul_i32 s1, s70, 0xffffe800
	s_mov_b32 s75, 0
	s_lshl_b64 s[70:71], s[74:75], 2
	v_mbcnt_hi_u32_b32 v6, -1, v11
	s_waitcnt lgkmcnt(0)
	s_add_i32 s75, s1, s0
	s_add_u32 s0, s56, s70
	s_addc_u32 s1, s57, s71
	v_and_b32_e32 v23, 0x1c0, v0
	v_lshlrev_b32_e32 v13, 2, v6
	v_mul_u32_u24_e32 v5, 12, v23
	v_mov_b32_e32 v3, s1
	v_add_co_u32_e32 v4, vcc, s0, v13
	v_addc_co_u32_e32 v8, vcc, 0, v3, vcc
	v_lshlrev_b32_e32 v14, 2, v5
	v_add_co_u32_e32 v3, vcc, v4, v14
	v_addc_co_u32_e32 v4, vcc, 0, v8, vcc
	v_or_b32_e32 v5, v6, v5
	v_mov_b32_e32 v7, -1
	v_cmp_gt_u32_e32 vcc, s75, v5
	v_mov_b32_e32 v8, -1
	s_and_saveexec_b64 s[0:1], vcc
	s_cbranch_execz .LBB25_3
; %bb.2:
	global_load_dword v8, v[3:4], off
	s_waitcnt vmcnt(0)
	v_xor_b32_e32 v8, 0x80000000, v8
.LBB25_3:
	s_or_b64 exec, exec, s[0:1]
	v_add_u32_e32 v9, 64, v5
	v_cmp_gt_u32_e64 s[0:1], s75, v9
	s_and_saveexec_b64 s[2:3], s[0:1]
	s_cbranch_execz .LBB25_5
; %bb.4:
	global_load_dword v7, v[3:4], off offset:256
	s_waitcnt vmcnt(0)
	v_xor_b32_e32 v7, 0x80000000, v7
.LBB25_5:
	s_or_b64 exec, exec, s[2:3]
	v_add_u32_e32 v9, 0x80, v5
	v_cmp_gt_u32_e64 s[2:3], s75, v9
	v_mov_b32_e32 v9, -1
	v_mov_b32_e32 v10, -1
	s_and_saveexec_b64 s[8:9], s[2:3]
	s_cbranch_execz .LBB25_7
; %bb.6:
	global_load_dword v10, v[3:4], off offset:512
	s_waitcnt vmcnt(0)
	v_xor_b32_e32 v10, 0x80000000, v10
.LBB25_7:
	s_or_b64 exec, exec, s[8:9]
	v_add_u32_e32 v12, 0xc0, v5
	v_cmp_gt_u32_e64 s[52:53], s75, v12
	s_and_saveexec_b64 s[8:9], s[52:53]
	s_cbranch_execz .LBB25_9
; %bb.8:
	global_load_dword v9, v[3:4], off offset:768
	s_waitcnt vmcnt(0)
	v_xor_b32_e32 v9, 0x80000000, v9
.LBB25_9:
	s_or_b64 exec, exec, s[8:9]
	v_add_u32_e32 v12, 0x100, v5
	v_cmp_gt_u32_e64 s[8:9], s75, v12
	v_mov_b32_e32 v15, -1
	v_mov_b32_e32 v16, -1
	s_and_saveexec_b64 s[10:11], s[8:9]
	s_cbranch_execz .LBB25_11
; %bb.10:
	global_load_dword v12, v[3:4], off offset:1024
	s_waitcnt vmcnt(0)
	v_xor_b32_e32 v16, 0x80000000, v12
.LBB25_11:
	s_or_b64 exec, exec, s[10:11]
	v_add_u32_e32 v12, 0x140, v5
	v_cmp_gt_u32_e64 s[10:11], s75, v12
	s_and_saveexec_b64 s[12:13], s[10:11]
	s_cbranch_execz .LBB25_13
; %bb.12:
	global_load_dword v12, v[3:4], off offset:1280
	s_waitcnt vmcnt(0)
	v_xor_b32_e32 v15, 0x80000000, v12
.LBB25_13:
	s_or_b64 exec, exec, s[12:13]
	v_add_u32_e32 v12, 0x180, v5
	v_cmp_gt_u32_e64 s[12:13], s75, v12
	v_mov_b32_e32 v17, -1
	v_mov_b32_e32 v18, -1
	s_and_saveexec_b64 s[14:15], s[12:13]
	s_cbranch_execz .LBB25_15
; %bb.14:
	global_load_dword v12, v[3:4], off offset:1536
	s_waitcnt vmcnt(0)
	v_xor_b32_e32 v18, 0x80000000, v12
.LBB25_15:
	s_or_b64 exec, exec, s[14:15]
	v_add_u32_e32 v12, 0x1c0, v5
	v_cmp_gt_u32_e64 s[14:15], s75, v12
	s_and_saveexec_b64 s[16:17], s[14:15]
	s_cbranch_execz .LBB25_17
; %bb.16:
	global_load_dword v12, v[3:4], off offset:1792
	s_waitcnt vmcnt(0)
	v_xor_b32_e32 v17, 0x80000000, v12
.LBB25_17:
	s_or_b64 exec, exec, s[16:17]
	v_add_u32_e32 v12, 0x200, v5
	v_cmp_gt_u32_e64 s[16:17], s75, v12
	v_mov_b32_e32 v19, -1
	v_mov_b32_e32 v20, -1
	s_and_saveexec_b64 s[18:19], s[16:17]
	s_cbranch_execz .LBB25_19
; %bb.18:
	global_load_dword v12, v[3:4], off offset:2048
	s_waitcnt vmcnt(0)
	v_xor_b32_e32 v20, 0x80000000, v12
.LBB25_19:
	s_or_b64 exec, exec, s[18:19]
	v_add_u32_e32 v12, 0x240, v5
	v_cmp_gt_u32_e64 s[18:19], s75, v12
	s_and_saveexec_b64 s[20:21], s[18:19]
	s_cbranch_execz .LBB25_21
; %bb.20:
	global_load_dword v12, v[3:4], off offset:2304
	s_waitcnt vmcnt(0)
	v_xor_b32_e32 v19, 0x80000000, v12
.LBB25_21:
	s_or_b64 exec, exec, s[20:21]
	v_add_u32_e32 v12, 0x280, v5
	v_cmp_gt_u32_e64 s[20:21], s75, v12
	v_mov_b32_e32 v21, -1
	v_mov_b32_e32 v22, -1
	s_and_saveexec_b64 s[22:23], s[20:21]
	s_cbranch_execz .LBB25_23
; %bb.22:
	global_load_dword v12, v[3:4], off offset:2560
	s_waitcnt vmcnt(0)
	v_xor_b32_e32 v22, 0x80000000, v12
.LBB25_23:
	s_or_b64 exec, exec, s[22:23]
	v_add_u32_e32 v5, 0x2c0, v5
	v_cmp_gt_u32_e64 s[22:23], s75, v5
	s_and_saveexec_b64 s[24:25], s[22:23]
	s_cbranch_execz .LBB25_25
; %bb.24:
	global_load_dword v3, v[3:4], off offset:2816
	s_waitcnt vmcnt(0)
	v_xor_b32_e32 v21, 0x80000000, v3
.LBB25_25:
	s_or_b64 exec, exec, s[24:25]
	s_load_dword s24, s[4:5], 0x5c
	s_load_dword s7, s[4:5], 0x50
	s_add_u32 s25, s4, 0x50
	s_addc_u32 s26, s5, 0
	v_mov_b32_e32 v3, 0
	s_waitcnt lgkmcnt(0)
	s_lshr_b32 s27, s24, 16
	s_cmp_lt_u32 s6, s7
	s_cselect_b32 s24, 12, 18
	s_add_u32 s24, s25, s24
	s_addc_u32 s25, s26, 0
	global_load_ushort v24, v3, s[24:25]
	s_lshl_b32 s24, -1, s69
	v_lshrrev_b32_e32 v4, s68, v8
	s_not_b32 s33, s24
	v_and_b32_e32 v5, s33, v4
	v_and_b32_e32 v26, 1, v5
	v_add_co_u32_e64 v28, s[24:25], -1, v26
	v_lshlrev_b32_e32 v4, 30, v5
	v_addc_co_u32_e64 v29, s[24:25], 0, -1, s[24:25]
	v_mad_u32_u24 v25, v2, s27, v1
	v_cmp_ne_u32_e64 s[24:25], 0, v26
	v_cmp_gt_i64_e64 s[26:27], 0, v[3:4]
	v_not_b32_e32 v26, v4
	v_lshlrev_b32_e32 v4, 29, v5
	v_xor_b32_e32 v29, s25, v29
	v_xor_b32_e32 v28, s24, v28
	v_ashrrev_i32_e32 v26, 31, v26
	v_cmp_gt_i64_e64 s[24:25], 0, v[3:4]
	v_not_b32_e32 v30, v4
	v_lshlrev_b32_e32 v4, 28, v5
	v_and_b32_e32 v29, exec_hi, v29
	v_and_b32_e32 v28, exec_lo, v28
	v_xor_b32_e32 v31, s27, v26
	v_xor_b32_e32 v26, s26, v26
	v_ashrrev_i32_e32 v30, 31, v30
	v_cmp_gt_i64_e64 s[26:27], 0, v[3:4]
	v_not_b32_e32 v32, v4
	v_lshlrev_b32_e32 v4, 27, v5
	v_mul_lo_u32 v27, v5, 36
	v_and_b32_e32 v5, v29, v31
	v_and_b32_e32 v26, v28, v26
	v_xor_b32_e32 v28, s25, v30
	v_xor_b32_e32 v29, s24, v30
	v_ashrrev_i32_e32 v30, 31, v32
	v_cmp_gt_i64_e64 s[24:25], 0, v[3:4]
	v_not_b32_e32 v4, v4
	v_and_b32_e32 v5, v5, v28
	v_and_b32_e32 v26, v26, v29
	v_xor_b32_e32 v28, s27, v30
	v_xor_b32_e32 v29, s26, v30
	v_ashrrev_i32_e32 v4, 31, v4
	v_and_b32_e32 v5, v5, v28
	v_and_b32_e32 v26, v26, v29
	v_xor_b32_e32 v28, s25, v4
	v_xor_b32_e32 v4, s24, v4
	v_and_b32_e32 v4, v26, v4
	v_and_b32_e32 v5, v5, v28
	v_mbcnt_lo_u32_b32 v28, v4, 0
	v_lshlrev_b32_e32 v12, 2, v0
	ds_write_b32 v12, v3 offset:32
	s_waitcnt vmcnt(0) lgkmcnt(0)
	s_barrier
	; wave barrier
	v_mad_u64_u32 v[25:26], s[24:25], v25, v24, v[0:1]
	v_cmp_ne_u64_e64 s[24:25], 0, v[4:5]
	v_mbcnt_hi_u32_b32 v24, v5, v28
	v_cmp_eq_u32_e64 s[26:27], 0, v24
	v_lshrrev_b32_e32 v33, 6, v25
	v_lshl_add_u32 v26, v33, 2, v27
	s_and_b64 s[26:27], s[24:25], s[26:27]
	s_and_saveexec_b64 s[24:25], s[26:27]
; %bb.26:
	v_bcnt_u32_b32 v4, v4, 0
	v_bcnt_u32_b32 v4, v5, v4
	ds_write_b32 v26, v4 offset:32
; %bb.27:
	s_or_b64 exec, exec, s[24:25]
	v_lshrrev_b32_e32 v4, s68, v7
	v_and_b32_e32 v5, s33, v4
	v_mul_lo_u32 v4, v5, 36
	v_and_b32_e32 v27, 1, v5
	; wave barrier
	v_lshl_add_u32 v28, v33, 2, v4
	v_add_co_u32_e64 v4, s[24:25], -1, v27
	v_addc_co_u32_e64 v29, s[24:25], 0, -1, s[24:25]
	v_cmp_ne_u32_e64 s[24:25], 0, v27
	v_xor_b32_e32 v4, s24, v4
	v_xor_b32_e32 v27, s25, v29
	v_and_b32_e32 v29, exec_lo, v4
	v_lshlrev_b32_e32 v4, 30, v5
	v_cmp_gt_i64_e64 s[24:25], 0, v[3:4]
	v_not_b32_e32 v4, v4
	v_ashrrev_i32_e32 v4, 31, v4
	v_xor_b32_e32 v30, s25, v4
	v_xor_b32_e32 v4, s24, v4
	v_and_b32_e32 v29, v29, v4
	v_lshlrev_b32_e32 v4, 29, v5
	v_cmp_gt_i64_e64 s[24:25], 0, v[3:4]
	v_not_b32_e32 v4, v4
	v_and_b32_e32 v27, exec_hi, v27
	v_ashrrev_i32_e32 v4, 31, v4
	v_and_b32_e32 v27, v27, v30
	v_xor_b32_e32 v30, s25, v4
	v_xor_b32_e32 v4, s24, v4
	v_and_b32_e32 v29, v29, v4
	v_lshlrev_b32_e32 v4, 28, v5
	v_cmp_gt_i64_e64 s[24:25], 0, v[3:4]
	v_not_b32_e32 v4, v4
	v_ashrrev_i32_e32 v4, 31, v4
	v_and_b32_e32 v27, v27, v30
	v_xor_b32_e32 v30, s25, v4
	v_xor_b32_e32 v4, s24, v4
	v_and_b32_e32 v29, v29, v4
	v_lshlrev_b32_e32 v4, 27, v5
	v_cmp_gt_i64_e64 s[24:25], 0, v[3:4]
	v_not_b32_e32 v3, v4
	v_ashrrev_i32_e32 v3, 31, v3
	v_xor_b32_e32 v4, s25, v3
	v_xor_b32_e32 v3, s24, v3
	ds_read_b32 v25, v28 offset:32
	v_and_b32_e32 v27, v27, v30
	v_and_b32_e32 v3, v29, v3
	;; [unrolled: 1-line block ×3, first 2 shown]
	v_mbcnt_lo_u32_b32 v5, v3, 0
	v_mbcnt_hi_u32_b32 v27, v4, v5
	v_cmp_ne_u64_e64 s[24:25], 0, v[3:4]
	v_cmp_eq_u32_e64 s[26:27], 0, v27
	s_and_b64 s[26:27], s[24:25], s[26:27]
	; wave barrier
	s_and_saveexec_b64 s[24:25], s[26:27]
	s_cbranch_execz .LBB25_29
; %bb.28:
	v_bcnt_u32_b32 v3, v3, 0
	v_bcnt_u32_b32 v3, v4, v3
	s_waitcnt lgkmcnt(0)
	v_add_u32_e32 v3, v25, v3
	ds_write_b32 v28, v3 offset:32
.LBB25_29:
	s_or_b64 exec, exec, s[24:25]
	v_lshrrev_b32_e32 v3, s68, v10
	v_and_b32_e32 v5, s33, v3
	v_and_b32_e32 v4, 1, v5
	v_mul_lo_u32 v3, v5, 36
	v_add_co_u32_e64 v30, s[24:25], -1, v4
	v_addc_co_u32_e64 v32, s[24:25], 0, -1, s[24:25]
	v_cmp_ne_u32_e64 s[24:25], 0, v4
	v_xor_b32_e32 v4, s25, v32
	v_lshl_add_u32 v31, v33, 2, v3
	v_mov_b32_e32 v3, 0
	v_and_b32_e32 v32, exec_hi, v4
	v_lshlrev_b32_e32 v4, 30, v5
	v_xor_b32_e32 v30, s24, v30
	v_cmp_gt_i64_e64 s[24:25], 0, v[3:4]
	v_not_b32_e32 v4, v4
	v_ashrrev_i32_e32 v4, 31, v4
	v_and_b32_e32 v30, exec_lo, v30
	v_xor_b32_e32 v34, s25, v4
	v_xor_b32_e32 v4, s24, v4
	v_and_b32_e32 v30, v30, v4
	v_lshlrev_b32_e32 v4, 29, v5
	v_cmp_gt_i64_e64 s[24:25], 0, v[3:4]
	v_not_b32_e32 v4, v4
	v_ashrrev_i32_e32 v4, 31, v4
	v_and_b32_e32 v32, v32, v34
	v_xor_b32_e32 v34, s25, v4
	v_xor_b32_e32 v4, s24, v4
	v_and_b32_e32 v30, v30, v4
	v_lshlrev_b32_e32 v4, 28, v5
	v_cmp_gt_i64_e64 s[24:25], 0, v[3:4]
	v_not_b32_e32 v4, v4
	v_ashrrev_i32_e32 v4, 31, v4
	v_and_b32_e32 v32, v32, v34
	v_xor_b32_e32 v34, s25, v4
	v_xor_b32_e32 v4, s24, v4
	v_and_b32_e32 v30, v30, v4
	v_lshlrev_b32_e32 v4, 27, v5
	v_cmp_gt_i64_e64 s[24:25], 0, v[3:4]
	v_not_b32_e32 v4, v4
	v_ashrrev_i32_e32 v4, 31, v4
	v_xor_b32_e32 v5, s25, v4
	v_xor_b32_e32 v4, s24, v4
	; wave barrier
	ds_read_b32 v29, v31 offset:32
	v_and_b32_e32 v32, v32, v34
	v_and_b32_e32 v4, v30, v4
	;; [unrolled: 1-line block ×3, first 2 shown]
	v_mbcnt_lo_u32_b32 v30, v4, 0
	v_mbcnt_hi_u32_b32 v30, v5, v30
	v_cmp_ne_u64_e64 s[24:25], 0, v[4:5]
	v_cmp_eq_u32_e64 s[26:27], 0, v30
	s_and_b64 s[26:27], s[24:25], s[26:27]
	; wave barrier
	s_and_saveexec_b64 s[24:25], s[26:27]
	s_cbranch_execz .LBB25_31
; %bb.30:
	v_bcnt_u32_b32 v4, v4, 0
	v_bcnt_u32_b32 v4, v5, v4
	s_waitcnt lgkmcnt(0)
	v_add_u32_e32 v4, v29, v4
	ds_write_b32 v31, v4 offset:32
.LBB25_31:
	s_or_b64 exec, exec, s[24:25]
	v_lshrrev_b32_e32 v4, s68, v9
	v_and_b32_e32 v5, s33, v4
	v_mul_lo_u32 v4, v5, 36
	v_and_b32_e32 v34, 1, v5
	; wave barrier
	v_lshl_add_u32 v35, v33, 2, v4
	v_add_co_u32_e64 v4, s[24:25], -1, v34
	v_addc_co_u32_e64 v36, s[24:25], 0, -1, s[24:25]
	v_cmp_ne_u32_e64 s[24:25], 0, v34
	v_xor_b32_e32 v4, s24, v4
	v_xor_b32_e32 v34, s25, v36
	v_and_b32_e32 v36, exec_lo, v4
	v_lshlrev_b32_e32 v4, 30, v5
	v_cmp_gt_i64_e64 s[24:25], 0, v[3:4]
	v_not_b32_e32 v4, v4
	v_ashrrev_i32_e32 v4, 31, v4
	v_xor_b32_e32 v37, s25, v4
	v_xor_b32_e32 v4, s24, v4
	v_and_b32_e32 v36, v36, v4
	v_lshlrev_b32_e32 v4, 29, v5
	v_cmp_gt_i64_e64 s[24:25], 0, v[3:4]
	v_not_b32_e32 v4, v4
	v_and_b32_e32 v34, exec_hi, v34
	v_ashrrev_i32_e32 v4, 31, v4
	v_and_b32_e32 v34, v34, v37
	v_xor_b32_e32 v37, s25, v4
	v_xor_b32_e32 v4, s24, v4
	v_and_b32_e32 v36, v36, v4
	v_lshlrev_b32_e32 v4, 28, v5
	v_cmp_gt_i64_e64 s[24:25], 0, v[3:4]
	v_not_b32_e32 v4, v4
	v_ashrrev_i32_e32 v4, 31, v4
	v_and_b32_e32 v34, v34, v37
	v_xor_b32_e32 v37, s25, v4
	v_xor_b32_e32 v4, s24, v4
	v_and_b32_e32 v36, v36, v4
	v_lshlrev_b32_e32 v4, 27, v5
	v_cmp_gt_i64_e64 s[24:25], 0, v[3:4]
	v_not_b32_e32 v3, v4
	v_ashrrev_i32_e32 v3, 31, v3
	v_xor_b32_e32 v4, s25, v3
	v_xor_b32_e32 v3, s24, v3
	ds_read_b32 v32, v35 offset:32
	v_and_b32_e32 v34, v34, v37
	v_and_b32_e32 v3, v36, v3
	;; [unrolled: 1-line block ×3, first 2 shown]
	v_mbcnt_lo_u32_b32 v5, v3, 0
	v_mbcnt_hi_u32_b32 v34, v4, v5
	v_cmp_ne_u64_e64 s[24:25], 0, v[3:4]
	v_cmp_eq_u32_e64 s[26:27], 0, v34
	s_and_b64 s[26:27], s[24:25], s[26:27]
	; wave barrier
	s_and_saveexec_b64 s[24:25], s[26:27]
	s_cbranch_execz .LBB25_33
; %bb.32:
	v_bcnt_u32_b32 v3, v3, 0
	v_bcnt_u32_b32 v3, v4, v3
	s_waitcnt lgkmcnt(0)
	v_add_u32_e32 v3, v32, v3
	ds_write_b32 v35, v3 offset:32
.LBB25_33:
	s_or_b64 exec, exec, s[24:25]
	v_lshrrev_b32_e32 v3, s68, v16
	v_and_b32_e32 v5, s33, v3
	v_and_b32_e32 v4, 1, v5
	v_mul_lo_u32 v3, v5, 36
	v_add_co_u32_e64 v37, s[24:25], -1, v4
	v_addc_co_u32_e64 v39, s[24:25], 0, -1, s[24:25]
	v_cmp_ne_u32_e64 s[24:25], 0, v4
	v_xor_b32_e32 v4, s25, v39
	v_lshl_add_u32 v38, v33, 2, v3
	v_mov_b32_e32 v3, 0
	v_and_b32_e32 v39, exec_hi, v4
	v_lshlrev_b32_e32 v4, 30, v5
	v_xor_b32_e32 v37, s24, v37
	v_cmp_gt_i64_e64 s[24:25], 0, v[3:4]
	v_not_b32_e32 v4, v4
	v_ashrrev_i32_e32 v4, 31, v4
	v_and_b32_e32 v37, exec_lo, v37
	v_xor_b32_e32 v40, s25, v4
	v_xor_b32_e32 v4, s24, v4
	v_and_b32_e32 v37, v37, v4
	v_lshlrev_b32_e32 v4, 29, v5
	v_cmp_gt_i64_e64 s[24:25], 0, v[3:4]
	v_not_b32_e32 v4, v4
	v_ashrrev_i32_e32 v4, 31, v4
	v_and_b32_e32 v39, v39, v40
	v_xor_b32_e32 v40, s25, v4
	v_xor_b32_e32 v4, s24, v4
	v_and_b32_e32 v37, v37, v4
	v_lshlrev_b32_e32 v4, 28, v5
	v_cmp_gt_i64_e64 s[24:25], 0, v[3:4]
	v_not_b32_e32 v4, v4
	v_ashrrev_i32_e32 v4, 31, v4
	v_and_b32_e32 v39, v39, v40
	v_xor_b32_e32 v40, s25, v4
	v_xor_b32_e32 v4, s24, v4
	v_and_b32_e32 v37, v37, v4
	v_lshlrev_b32_e32 v4, 27, v5
	v_cmp_gt_i64_e64 s[24:25], 0, v[3:4]
	v_not_b32_e32 v4, v4
	v_ashrrev_i32_e32 v4, 31, v4
	v_xor_b32_e32 v5, s25, v4
	v_xor_b32_e32 v4, s24, v4
	; wave barrier
	ds_read_b32 v36, v38 offset:32
	v_and_b32_e32 v39, v39, v40
	v_and_b32_e32 v4, v37, v4
	;; [unrolled: 1-line block ×3, first 2 shown]
	v_mbcnt_lo_u32_b32 v37, v4, 0
	v_mbcnt_hi_u32_b32 v37, v5, v37
	v_cmp_ne_u64_e64 s[24:25], 0, v[4:5]
	v_cmp_eq_u32_e64 s[26:27], 0, v37
	s_and_b64 s[26:27], s[24:25], s[26:27]
	; wave barrier
	s_and_saveexec_b64 s[24:25], s[26:27]
	s_cbranch_execz .LBB25_35
; %bb.34:
	v_bcnt_u32_b32 v4, v4, 0
	v_bcnt_u32_b32 v4, v5, v4
	s_waitcnt lgkmcnt(0)
	v_add_u32_e32 v4, v36, v4
	ds_write_b32 v38, v4 offset:32
.LBB25_35:
	s_or_b64 exec, exec, s[24:25]
	v_lshrrev_b32_e32 v4, s68, v15
	v_and_b32_e32 v5, s33, v4
	v_mul_lo_u32 v4, v5, 36
	v_and_b32_e32 v40, 1, v5
	; wave barrier
	v_lshl_add_u32 v42, v33, 2, v4
	v_add_co_u32_e64 v4, s[24:25], -1, v40
	v_addc_co_u32_e64 v41, s[24:25], 0, -1, s[24:25]
	v_cmp_ne_u32_e64 s[24:25], 0, v40
	v_xor_b32_e32 v4, s24, v4
	v_xor_b32_e32 v40, s25, v41
	v_and_b32_e32 v41, exec_lo, v4
	v_lshlrev_b32_e32 v4, 30, v5
	v_cmp_gt_i64_e64 s[24:25], 0, v[3:4]
	v_not_b32_e32 v4, v4
	v_ashrrev_i32_e32 v4, 31, v4
	v_xor_b32_e32 v43, s25, v4
	v_xor_b32_e32 v4, s24, v4
	v_and_b32_e32 v41, v41, v4
	v_lshlrev_b32_e32 v4, 29, v5
	v_cmp_gt_i64_e64 s[24:25], 0, v[3:4]
	v_not_b32_e32 v4, v4
	v_and_b32_e32 v40, exec_hi, v40
	v_ashrrev_i32_e32 v4, 31, v4
	v_and_b32_e32 v40, v40, v43
	v_xor_b32_e32 v43, s25, v4
	v_xor_b32_e32 v4, s24, v4
	v_and_b32_e32 v41, v41, v4
	v_lshlrev_b32_e32 v4, 28, v5
	v_cmp_gt_i64_e64 s[24:25], 0, v[3:4]
	v_not_b32_e32 v4, v4
	v_ashrrev_i32_e32 v4, 31, v4
	v_and_b32_e32 v40, v40, v43
	v_xor_b32_e32 v43, s25, v4
	v_xor_b32_e32 v4, s24, v4
	v_and_b32_e32 v41, v41, v4
	v_lshlrev_b32_e32 v4, 27, v5
	v_cmp_gt_i64_e64 s[24:25], 0, v[3:4]
	v_not_b32_e32 v3, v4
	v_ashrrev_i32_e32 v3, 31, v3
	v_xor_b32_e32 v4, s25, v3
	v_xor_b32_e32 v3, s24, v3
	ds_read_b32 v39, v42 offset:32
	v_and_b32_e32 v40, v40, v43
	v_and_b32_e32 v3, v41, v3
	;; [unrolled: 1-line block ×3, first 2 shown]
	v_mbcnt_lo_u32_b32 v5, v3, 0
	v_mbcnt_hi_u32_b32 v40, v4, v5
	v_cmp_ne_u64_e64 s[24:25], 0, v[3:4]
	v_cmp_eq_u32_e64 s[26:27], 0, v40
	s_and_b64 s[26:27], s[24:25], s[26:27]
	; wave barrier
	s_and_saveexec_b64 s[24:25], s[26:27]
	s_cbranch_execz .LBB25_37
; %bb.36:
	v_bcnt_u32_b32 v3, v3, 0
	v_bcnt_u32_b32 v3, v4, v3
	s_waitcnt lgkmcnt(0)
	v_add_u32_e32 v3, v39, v3
	ds_write_b32 v42, v3 offset:32
.LBB25_37:
	s_or_b64 exec, exec, s[24:25]
	v_lshrrev_b32_e32 v3, s68, v18
	v_and_b32_e32 v5, s33, v3
	v_and_b32_e32 v4, 1, v5
	v_mul_lo_u32 v3, v5, 36
	v_add_co_u32_e64 v43, s[24:25], -1, v4
	v_addc_co_u32_e64 v44, s[24:25], 0, -1, s[24:25]
	v_cmp_ne_u32_e64 s[24:25], 0, v4
	v_xor_b32_e32 v4, s25, v44
	v_lshl_add_u32 v45, v33, 2, v3
	v_mov_b32_e32 v3, 0
	v_and_b32_e32 v44, exec_hi, v4
	v_lshlrev_b32_e32 v4, 30, v5
	v_xor_b32_e32 v43, s24, v43
	v_cmp_gt_i64_e64 s[24:25], 0, v[3:4]
	v_not_b32_e32 v4, v4
	v_ashrrev_i32_e32 v4, 31, v4
	v_and_b32_e32 v43, exec_lo, v43
	v_xor_b32_e32 v46, s25, v4
	v_xor_b32_e32 v4, s24, v4
	v_and_b32_e32 v43, v43, v4
	v_lshlrev_b32_e32 v4, 29, v5
	v_cmp_gt_i64_e64 s[24:25], 0, v[3:4]
	v_not_b32_e32 v4, v4
	v_ashrrev_i32_e32 v4, 31, v4
	v_and_b32_e32 v44, v44, v46
	v_xor_b32_e32 v46, s25, v4
	v_xor_b32_e32 v4, s24, v4
	v_and_b32_e32 v43, v43, v4
	v_lshlrev_b32_e32 v4, 28, v5
	v_cmp_gt_i64_e64 s[24:25], 0, v[3:4]
	v_not_b32_e32 v4, v4
	v_ashrrev_i32_e32 v4, 31, v4
	v_and_b32_e32 v44, v44, v46
	v_xor_b32_e32 v46, s25, v4
	v_xor_b32_e32 v4, s24, v4
	v_and_b32_e32 v43, v43, v4
	v_lshlrev_b32_e32 v4, 27, v5
	v_cmp_gt_i64_e64 s[24:25], 0, v[3:4]
	v_not_b32_e32 v4, v4
	v_ashrrev_i32_e32 v4, 31, v4
	v_xor_b32_e32 v5, s25, v4
	v_xor_b32_e32 v4, s24, v4
	; wave barrier
	ds_read_b32 v41, v45 offset:32
	v_and_b32_e32 v44, v44, v46
	v_and_b32_e32 v4, v43, v4
	;; [unrolled: 1-line block ×3, first 2 shown]
	v_mbcnt_lo_u32_b32 v43, v4, 0
	v_mbcnt_hi_u32_b32 v43, v5, v43
	v_cmp_ne_u64_e64 s[24:25], 0, v[4:5]
	v_cmp_eq_u32_e64 s[26:27], 0, v43
	s_and_b64 s[26:27], s[24:25], s[26:27]
	; wave barrier
	s_and_saveexec_b64 s[24:25], s[26:27]
	s_cbranch_execz .LBB25_39
; %bb.38:
	v_bcnt_u32_b32 v4, v4, 0
	v_bcnt_u32_b32 v4, v5, v4
	s_waitcnt lgkmcnt(0)
	v_add_u32_e32 v4, v41, v4
	ds_write_b32 v45, v4 offset:32
.LBB25_39:
	s_or_b64 exec, exec, s[24:25]
	v_lshrrev_b32_e32 v4, s68, v17
	v_and_b32_e32 v5, s33, v4
	v_mul_lo_u32 v4, v5, 36
	v_and_b32_e32 v46, 1, v5
	; wave barrier
	v_lshl_add_u32 v48, v33, 2, v4
	v_add_co_u32_e64 v4, s[24:25], -1, v46
	v_addc_co_u32_e64 v47, s[24:25], 0, -1, s[24:25]
	v_cmp_ne_u32_e64 s[24:25], 0, v46
	v_xor_b32_e32 v4, s24, v4
	v_xor_b32_e32 v46, s25, v47
	v_and_b32_e32 v47, exec_lo, v4
	v_lshlrev_b32_e32 v4, 30, v5
	v_cmp_gt_i64_e64 s[24:25], 0, v[3:4]
	v_not_b32_e32 v4, v4
	v_ashrrev_i32_e32 v4, 31, v4
	v_xor_b32_e32 v49, s25, v4
	v_xor_b32_e32 v4, s24, v4
	v_and_b32_e32 v47, v47, v4
	v_lshlrev_b32_e32 v4, 29, v5
	v_cmp_gt_i64_e64 s[24:25], 0, v[3:4]
	v_not_b32_e32 v4, v4
	v_and_b32_e32 v46, exec_hi, v46
	v_ashrrev_i32_e32 v4, 31, v4
	v_and_b32_e32 v46, v46, v49
	v_xor_b32_e32 v49, s25, v4
	v_xor_b32_e32 v4, s24, v4
	v_and_b32_e32 v47, v47, v4
	v_lshlrev_b32_e32 v4, 28, v5
	v_cmp_gt_i64_e64 s[24:25], 0, v[3:4]
	v_not_b32_e32 v4, v4
	v_ashrrev_i32_e32 v4, 31, v4
	v_and_b32_e32 v46, v46, v49
	v_xor_b32_e32 v49, s25, v4
	v_xor_b32_e32 v4, s24, v4
	v_and_b32_e32 v47, v47, v4
	v_lshlrev_b32_e32 v4, 27, v5
	v_cmp_gt_i64_e64 s[24:25], 0, v[3:4]
	v_not_b32_e32 v3, v4
	v_ashrrev_i32_e32 v3, 31, v3
	v_xor_b32_e32 v4, s25, v3
	v_xor_b32_e32 v3, s24, v3
	ds_read_b32 v44, v48 offset:32
	v_and_b32_e32 v46, v46, v49
	v_and_b32_e32 v3, v47, v3
	;; [unrolled: 1-line block ×3, first 2 shown]
	v_mbcnt_lo_u32_b32 v5, v3, 0
	v_mbcnt_hi_u32_b32 v46, v4, v5
	v_cmp_ne_u64_e64 s[24:25], 0, v[3:4]
	v_cmp_eq_u32_e64 s[26:27], 0, v46
	s_and_b64 s[26:27], s[24:25], s[26:27]
	; wave barrier
	s_and_saveexec_b64 s[24:25], s[26:27]
	s_cbranch_execz .LBB25_41
; %bb.40:
	v_bcnt_u32_b32 v3, v3, 0
	v_bcnt_u32_b32 v3, v4, v3
	s_waitcnt lgkmcnt(0)
	v_add_u32_e32 v3, v44, v3
	ds_write_b32 v48, v3 offset:32
.LBB25_41:
	s_or_b64 exec, exec, s[24:25]
	v_lshrrev_b32_e32 v3, s68, v20
	v_and_b32_e32 v5, s33, v3
	v_and_b32_e32 v4, 1, v5
	v_mul_lo_u32 v3, v5, 36
	v_add_co_u32_e64 v49, s[24:25], -1, v4
	v_addc_co_u32_e64 v50, s[24:25], 0, -1, s[24:25]
	v_cmp_ne_u32_e64 s[24:25], 0, v4
	v_xor_b32_e32 v4, s25, v50
	v_lshl_add_u32 v51, v33, 2, v3
	v_mov_b32_e32 v3, 0
	v_and_b32_e32 v50, exec_hi, v4
	v_lshlrev_b32_e32 v4, 30, v5
	v_xor_b32_e32 v49, s24, v49
	v_cmp_gt_i64_e64 s[24:25], 0, v[3:4]
	v_not_b32_e32 v4, v4
	v_ashrrev_i32_e32 v4, 31, v4
	v_and_b32_e32 v49, exec_lo, v49
	v_xor_b32_e32 v52, s25, v4
	v_xor_b32_e32 v4, s24, v4
	v_and_b32_e32 v49, v49, v4
	v_lshlrev_b32_e32 v4, 29, v5
	v_cmp_gt_i64_e64 s[24:25], 0, v[3:4]
	v_not_b32_e32 v4, v4
	v_ashrrev_i32_e32 v4, 31, v4
	v_and_b32_e32 v50, v50, v52
	v_xor_b32_e32 v52, s25, v4
	v_xor_b32_e32 v4, s24, v4
	v_and_b32_e32 v49, v49, v4
	v_lshlrev_b32_e32 v4, 28, v5
	v_cmp_gt_i64_e64 s[24:25], 0, v[3:4]
	v_not_b32_e32 v4, v4
	v_ashrrev_i32_e32 v4, 31, v4
	v_and_b32_e32 v50, v50, v52
	v_xor_b32_e32 v52, s25, v4
	v_xor_b32_e32 v4, s24, v4
	v_and_b32_e32 v49, v49, v4
	v_lshlrev_b32_e32 v4, 27, v5
	v_cmp_gt_i64_e64 s[24:25], 0, v[3:4]
	v_not_b32_e32 v4, v4
	v_ashrrev_i32_e32 v4, 31, v4
	v_xor_b32_e32 v5, s25, v4
	v_xor_b32_e32 v4, s24, v4
	; wave barrier
	ds_read_b32 v47, v51 offset:32
	v_and_b32_e32 v50, v50, v52
	v_and_b32_e32 v4, v49, v4
	;; [unrolled: 1-line block ×3, first 2 shown]
	v_mbcnt_lo_u32_b32 v49, v4, 0
	v_mbcnt_hi_u32_b32 v49, v5, v49
	v_cmp_ne_u64_e64 s[24:25], 0, v[4:5]
	v_cmp_eq_u32_e64 s[26:27], 0, v49
	s_and_b64 s[26:27], s[24:25], s[26:27]
	; wave barrier
	s_and_saveexec_b64 s[24:25], s[26:27]
	s_cbranch_execz .LBB25_43
; %bb.42:
	v_bcnt_u32_b32 v4, v4, 0
	v_bcnt_u32_b32 v4, v5, v4
	s_waitcnt lgkmcnt(0)
	v_add_u32_e32 v4, v47, v4
	ds_write_b32 v51, v4 offset:32
.LBB25_43:
	s_or_b64 exec, exec, s[24:25]
	v_lshrrev_b32_e32 v4, s68, v19
	v_and_b32_e32 v5, s33, v4
	v_mul_lo_u32 v4, v5, 36
	v_and_b32_e32 v52, 1, v5
	; wave barrier
	v_lshl_add_u32 v54, v33, 2, v4
	v_add_co_u32_e64 v4, s[24:25], -1, v52
	v_addc_co_u32_e64 v53, s[24:25], 0, -1, s[24:25]
	v_cmp_ne_u32_e64 s[24:25], 0, v52
	v_xor_b32_e32 v4, s24, v4
	v_xor_b32_e32 v52, s25, v53
	v_and_b32_e32 v53, exec_lo, v4
	v_lshlrev_b32_e32 v4, 30, v5
	v_cmp_gt_i64_e64 s[24:25], 0, v[3:4]
	v_not_b32_e32 v4, v4
	v_ashrrev_i32_e32 v4, 31, v4
	v_xor_b32_e32 v55, s25, v4
	v_xor_b32_e32 v4, s24, v4
	v_and_b32_e32 v53, v53, v4
	v_lshlrev_b32_e32 v4, 29, v5
	v_cmp_gt_i64_e64 s[24:25], 0, v[3:4]
	v_not_b32_e32 v4, v4
	v_and_b32_e32 v52, exec_hi, v52
	v_ashrrev_i32_e32 v4, 31, v4
	v_and_b32_e32 v52, v52, v55
	v_xor_b32_e32 v55, s25, v4
	v_xor_b32_e32 v4, s24, v4
	v_and_b32_e32 v53, v53, v4
	v_lshlrev_b32_e32 v4, 28, v5
	v_cmp_gt_i64_e64 s[24:25], 0, v[3:4]
	v_not_b32_e32 v4, v4
	v_ashrrev_i32_e32 v4, 31, v4
	v_and_b32_e32 v52, v52, v55
	v_xor_b32_e32 v55, s25, v4
	v_xor_b32_e32 v4, s24, v4
	v_and_b32_e32 v53, v53, v4
	v_lshlrev_b32_e32 v4, 27, v5
	v_cmp_gt_i64_e64 s[24:25], 0, v[3:4]
	v_not_b32_e32 v3, v4
	v_ashrrev_i32_e32 v3, 31, v3
	v_xor_b32_e32 v4, s25, v3
	v_xor_b32_e32 v3, s24, v3
	ds_read_b32 v50, v54 offset:32
	v_and_b32_e32 v52, v52, v55
	v_and_b32_e32 v3, v53, v3
	v_and_b32_e32 v4, v52, v4
	v_mbcnt_lo_u32_b32 v5, v3, 0
	v_mbcnt_hi_u32_b32 v52, v4, v5
	v_cmp_ne_u64_e64 s[24:25], 0, v[3:4]
	v_cmp_eq_u32_e64 s[26:27], 0, v52
	s_and_b64 s[26:27], s[24:25], s[26:27]
	; wave barrier
	s_and_saveexec_b64 s[24:25], s[26:27]
	s_cbranch_execz .LBB25_45
; %bb.44:
	v_bcnt_u32_b32 v3, v3, 0
	v_bcnt_u32_b32 v3, v4, v3
	s_waitcnt lgkmcnt(0)
	v_add_u32_e32 v3, v50, v3
	ds_write_b32 v54, v3 offset:32
.LBB25_45:
	s_or_b64 exec, exec, s[24:25]
	v_lshrrev_b32_e32 v3, s68, v22
	v_and_b32_e32 v5, s33, v3
	v_and_b32_e32 v4, 1, v5
	v_mul_lo_u32 v3, v5, 36
	v_add_co_u32_e64 v55, s[24:25], -1, v4
	v_addc_co_u32_e64 v57, s[24:25], 0, -1, s[24:25]
	v_cmp_ne_u32_e64 s[24:25], 0, v4
	v_xor_b32_e32 v4, s25, v57
	v_lshl_add_u32 v56, v33, 2, v3
	v_mov_b32_e32 v3, 0
	v_and_b32_e32 v57, exec_hi, v4
	v_lshlrev_b32_e32 v4, 30, v5
	v_xor_b32_e32 v55, s24, v55
	v_cmp_gt_i64_e64 s[24:25], 0, v[3:4]
	v_not_b32_e32 v4, v4
	v_ashrrev_i32_e32 v4, 31, v4
	v_and_b32_e32 v55, exec_lo, v55
	v_xor_b32_e32 v58, s25, v4
	v_xor_b32_e32 v4, s24, v4
	v_and_b32_e32 v55, v55, v4
	v_lshlrev_b32_e32 v4, 29, v5
	v_cmp_gt_i64_e64 s[24:25], 0, v[3:4]
	v_not_b32_e32 v4, v4
	v_ashrrev_i32_e32 v4, 31, v4
	v_and_b32_e32 v57, v57, v58
	v_xor_b32_e32 v58, s25, v4
	v_xor_b32_e32 v4, s24, v4
	v_and_b32_e32 v55, v55, v4
	v_lshlrev_b32_e32 v4, 28, v5
	v_cmp_gt_i64_e64 s[24:25], 0, v[3:4]
	v_not_b32_e32 v4, v4
	v_ashrrev_i32_e32 v4, 31, v4
	v_and_b32_e32 v57, v57, v58
	v_xor_b32_e32 v58, s25, v4
	v_xor_b32_e32 v4, s24, v4
	v_and_b32_e32 v55, v55, v4
	v_lshlrev_b32_e32 v4, 27, v5
	v_cmp_gt_i64_e64 s[24:25], 0, v[3:4]
	v_not_b32_e32 v4, v4
	v_ashrrev_i32_e32 v4, 31, v4
	v_xor_b32_e32 v5, s25, v4
	v_xor_b32_e32 v4, s24, v4
	; wave barrier
	ds_read_b32 v53, v56 offset:32
	v_and_b32_e32 v57, v57, v58
	v_and_b32_e32 v4, v55, v4
	;; [unrolled: 1-line block ×3, first 2 shown]
	v_mbcnt_lo_u32_b32 v55, v4, 0
	v_mbcnt_hi_u32_b32 v55, v5, v55
	v_cmp_ne_u64_e64 s[24:25], 0, v[4:5]
	v_cmp_eq_u32_e64 s[26:27], 0, v55
	s_and_b64 s[26:27], s[24:25], s[26:27]
	; wave barrier
	s_and_saveexec_b64 s[24:25], s[26:27]
	s_cbranch_execz .LBB25_47
; %bb.46:
	v_bcnt_u32_b32 v4, v4, 0
	v_bcnt_u32_b32 v4, v5, v4
	s_waitcnt lgkmcnt(0)
	v_add_u32_e32 v4, v53, v4
	ds_write_b32 v56, v4 offset:32
.LBB25_47:
	s_or_b64 exec, exec, s[24:25]
	v_lshrrev_b32_e32 v4, s68, v21
	v_and_b32_e32 v58, s33, v4
	v_mul_lo_u32 v4, v58, 36
	v_and_b32_e32 v59, 1, v58
	; wave barrier
	v_lshl_add_u32 v57, v33, 2, v4
	v_add_co_u32_e64 v4, s[24:25], -1, v59
	v_addc_co_u32_e64 v33, s[24:25], 0, -1, s[24:25]
	v_cmp_ne_u32_e64 s[24:25], 0, v59
	v_xor_b32_e32 v4, s24, v4
	v_and_b32_e32 v59, exec_lo, v4
	v_lshlrev_b32_e32 v4, 30, v58
	v_xor_b32_e32 v33, s25, v33
	v_cmp_gt_i64_e64 s[24:25], 0, v[3:4]
	v_not_b32_e32 v4, v4
	v_ashrrev_i32_e32 v4, 31, v4
	v_xor_b32_e32 v60, s25, v4
	v_xor_b32_e32 v4, s24, v4
	v_and_b32_e32 v59, v59, v4
	v_lshlrev_b32_e32 v4, 29, v58
	v_cmp_gt_i64_e64 s[24:25], 0, v[3:4]
	v_not_b32_e32 v4, v4
	v_and_b32_e32 v33, exec_hi, v33
	v_ashrrev_i32_e32 v4, 31, v4
	v_and_b32_e32 v33, v33, v60
	v_xor_b32_e32 v60, s25, v4
	v_xor_b32_e32 v4, s24, v4
	v_and_b32_e32 v59, v59, v4
	v_lshlrev_b32_e32 v4, 28, v58
	v_cmp_gt_i64_e64 s[24:25], 0, v[3:4]
	v_not_b32_e32 v4, v4
	v_ashrrev_i32_e32 v4, 31, v4
	v_and_b32_e32 v33, v33, v60
	v_xor_b32_e32 v60, s25, v4
	v_xor_b32_e32 v4, s24, v4
	v_and_b32_e32 v59, v59, v4
	v_lshlrev_b32_e32 v4, 27, v58
	v_cmp_gt_i64_e64 s[24:25], 0, v[3:4]
	v_not_b32_e32 v3, v4
	v_ashrrev_i32_e32 v3, 31, v3
	v_xor_b32_e32 v4, s25, v3
	v_xor_b32_e32 v3, s24, v3
	ds_read_b32 v5, v57 offset:32
	v_and_b32_e32 v33, v33, v60
	v_and_b32_e32 v3, v59, v3
	;; [unrolled: 1-line block ×3, first 2 shown]
	v_mbcnt_lo_u32_b32 v33, v3, 0
	v_mbcnt_hi_u32_b32 v33, v4, v33
	v_cmp_ne_u64_e64 s[24:25], 0, v[3:4]
	v_cmp_eq_u32_e64 s[26:27], 0, v33
	s_and_b64 s[26:27], s[24:25], s[26:27]
	; wave barrier
	s_and_saveexec_b64 s[24:25], s[26:27]
	s_cbranch_execz .LBB25_49
; %bb.48:
	v_bcnt_u32_b32 v3, v3, 0
	v_bcnt_u32_b32 v3, v4, v3
	s_waitcnt lgkmcnt(0)
	v_add_u32_e32 v3, v5, v3
	ds_write_b32 v57, v3 offset:32
.LBB25_49:
	s_or_b64 exec, exec, s[24:25]
	; wave barrier
	s_waitcnt lgkmcnt(0)
	s_barrier
	ds_read_b32 v3, v12 offset:32
	v_and_b32_e32 v4, 15, v6
	v_cmp_ne_u32_e64 s[24:25], 0, v4
	v_min_u32_e32 v23, 0x1c0, v23
	v_or_b32_e32 v23, 63, v23
	s_waitcnt lgkmcnt(0)
	v_mov_b32_dpp v58, v3 row_shr:1 row_mask:0xf bank_mask:0xf
	v_cndmask_b32_e64 v58, 0, v58, s[24:25]
	v_add_u32_e32 v3, v58, v3
	v_cmp_lt_u32_e64 s[24:25], 1, v4
	s_nop 0
	v_mov_b32_dpp v58, v3 row_shr:2 row_mask:0xf bank_mask:0xf
	v_cndmask_b32_e64 v58, 0, v58, s[24:25]
	v_add_u32_e32 v3, v3, v58
	v_cmp_lt_u32_e64 s[24:25], 3, v4
	s_nop 0
	;; [unrolled: 5-line block ×3, first 2 shown]
	v_mov_b32_dpp v58, v3 row_shr:8 row_mask:0xf bank_mask:0xf
	v_cndmask_b32_e64 v4, 0, v58, s[24:25]
	v_add_u32_e32 v3, v3, v4
	v_bfe_i32 v58, v6, 4, 1
	v_cmp_lt_u32_e64 s[24:25], 31, v6
	v_mov_b32_dpp v4, v3 row_bcast:15 row_mask:0xf bank_mask:0xf
	v_and_b32_e32 v4, v58, v4
	v_add_u32_e32 v3, v3, v4
	s_nop 1
	v_mov_b32_dpp v4, v3 row_bcast:31 row_mask:0xf bank_mask:0xf
	v_cndmask_b32_e64 v4, 0, v4, s[24:25]
	v_add_u32_e32 v3, v3, v4
	v_lshrrev_b32_e32 v4, 6, v0
	v_cmp_eq_u32_e64 s[24:25], v0, v23
	s_and_saveexec_b64 s[26:27], s[24:25]
; %bb.50:
	v_lshlrev_b32_e32 v23, 2, v4
	ds_write_b32 v23, v3
; %bb.51:
	s_or_b64 exec, exec, s[26:27]
	v_cmp_gt_u32_e64 s[24:25], 8, v0
	s_waitcnt lgkmcnt(0)
	s_barrier
	s_and_saveexec_b64 s[26:27], s[24:25]
	s_cbranch_execz .LBB25_53
; %bb.52:
	ds_read_b32 v23, v12
	v_and_b32_e32 v58, 7, v6
	v_cmp_ne_u32_e64 s[24:25], 0, v58
	s_waitcnt lgkmcnt(0)
	v_mov_b32_dpp v59, v23 row_shr:1 row_mask:0xf bank_mask:0xf
	v_cndmask_b32_e64 v59, 0, v59, s[24:25]
	v_add_u32_e32 v23, v59, v23
	v_cmp_lt_u32_e64 s[24:25], 1, v58
	s_nop 0
	v_mov_b32_dpp v59, v23 row_shr:2 row_mask:0xf bank_mask:0xf
	v_cndmask_b32_e64 v59, 0, v59, s[24:25]
	v_add_u32_e32 v23, v23, v59
	v_cmp_lt_u32_e64 s[24:25], 3, v58
	s_nop 0
	v_mov_b32_dpp v59, v23 row_shr:4 row_mask:0xf bank_mask:0xf
	v_cndmask_b32_e64 v58, 0, v59, s[24:25]
	v_add_u32_e32 v23, v23, v58
	ds_write_b32 v12, v23
.LBB25_53:
	s_or_b64 exec, exec, s[26:27]
	v_cmp_lt_u32_e64 s[24:25], 63, v0
	v_mov_b32_e32 v23, 0
	s_waitcnt lgkmcnt(0)
	s_barrier
	s_and_saveexec_b64 s[26:27], s[24:25]
; %bb.54:
	v_lshl_add_u32 v4, v4, 2, -4
	ds_read_b32 v23, v4
; %bb.55:
	s_or_b64 exec, exec, s[26:27]
	v_add_u32_e32 v4, -1, v6
	v_and_b32_e32 v58, 64, v6
	v_cmp_lt_i32_e64 s[24:25], v4, v58
	v_cndmask_b32_e64 v4, v4, v6, s[24:25]
	s_waitcnt lgkmcnt(0)
	v_add_u32_e32 v3, v23, v3
	v_lshlrev_b32_e32 v4, 2, v4
	ds_bpermute_b32 v3, v4, v3
	v_cmp_eq_u32_e64 s[24:25], 0, v6
	v_cmp_gt_u32_e64 s[26:27], 32, v0
	s_waitcnt lgkmcnt(0)
	v_cndmask_b32_e64 v3, v3, v23, s[24:25]
	ds_write_b32 v12, v3 offset:32
	s_waitcnt lgkmcnt(0)
	s_barrier
	ds_read_b32 v62, v26 offset:32
	ds_read_b32 v61, v28 offset:32
	;; [unrolled: 1-line block ×12, first 2 shown]
	v_mov_b32_e32 v3, 0
	v_cmp_lt_u32_e64 s[24:25], 31, v0
	v_mov_b32_e32 v4, 0
                                        ; implicit-def: $vgpr23
	s_and_saveexec_b64 s[30:31], s[26:27]
	s_cbranch_execz .LBB25_59
; %bb.56:
	v_mul_u32_u24_e32 v3, 36, v0
	ds_read_b32 v3, v3 offset:32
	v_add_u32_e32 v6, 1, v0
	v_cmp_ne_u32_e64 s[28:29], 32, v6
	v_mov_b32_e32 v4, 0x1800
	s_and_saveexec_b64 s[34:35], s[28:29]
; %bb.57:
	v_mul_u32_u24_e32 v4, 36, v6
	ds_read_b32 v4, v4 offset:32
; %bb.58:
	s_or_b64 exec, exec, s[34:35]
	s_waitcnt lgkmcnt(0)
	v_sub_u32_e32 v23, v4, v3
	v_mov_b32_e32 v4, 0
.LBB25_59:
	s_or_b64 exec, exec, s[30:31]
	v_lshlrev_b32_e32 v24, 2, v24
	s_waitcnt lgkmcnt(11)
	v_lshl_add_u32 v24, v62, 2, v24
	s_waitcnt lgkmcnt(0)
	s_barrier
	ds_write_b32 v24, v8 offset:256
	v_lshlrev_b32_e32 v8, 2, v61
	v_lshlrev_b32_e32 v27, 2, v27
	v_lshlrev_b32_e32 v25, 2, v25
	v_add3_u32 v25, v8, v27, v25
	ds_write_b32 v25, v7 offset:256
	v_lshlrev_b32_e32 v7, 2, v26
	v_lshlrev_b32_e32 v8, 2, v30
	v_lshlrev_b32_e32 v26, 2, v29
	v_add3_u32 v26, v7, v8, v26
	;; [unrolled: 5-line block ×4, first 2 shown]
	v_lshlrev_b32_e32 v7, 2, v59
	v_lshlrev_b32_e32 v8, 2, v40
	;; [unrolled: 1-line block ×3, first 2 shown]
	ds_write_b32 v28, v16 offset:256
	v_add3_u32 v16, v7, v8, v9
	v_lshlrev_b32_e32 v7, 2, v58
	v_lshlrev_b32_e32 v8, 2, v43
	;; [unrolled: 1-line block ×3, first 2 shown]
	v_add3_u32 v29, v7, v8, v9
	v_lshlrev_b32_e32 v7, 2, v45
	v_lshlrev_b32_e32 v8, 2, v46
	;; [unrolled: 1-line block ×3, first 2 shown]
	ds_write_b32 v16, v15 offset:256
	ds_write_b32 v29, v18 offset:256
	v_add3_u32 v18, v7, v8, v9
	v_lshlrev_b32_e32 v7, 2, v42
	v_lshlrev_b32_e32 v8, 2, v49
	v_lshlrev_b32_e32 v9, 2, v47
	ds_write_b32 v18, v17 offset:256
	v_add3_u32 v17, v7, v8, v9
	v_lshlrev_b32_e32 v7, 2, v38
	v_lshlrev_b32_e32 v8, 2, v52
	v_lshlrev_b32_e32 v9, 2, v50
	;; [unrolled: 5-line block ×4, first 2 shown]
	v_mov_b32_e32 v6, 0
	ds_write_b32 v19, v22 offset:256
	v_add3_u32 v22, v7, v8, v5
	v_lshlrev_b32_e32 v15, 3, v0
	ds_write_b32 v22, v21 offset:256
	s_waitcnt lgkmcnt(0)
	s_barrier
	s_and_saveexec_b64 s[28:29], s[26:27]
	s_cbranch_execz .LBB25_69
; %bb.60:
	v_lshl_add_u32 v5, s6, 5, v0
	v_lshlrev_b64 v[7:8], 2, v[5:6]
	v_mov_b32_e32 v21, s73
	v_add_co_u32_e64 v7, s[26:27], s72, v7
	v_addc_co_u32_e64 v8, s[26:27], v21, v8, s[26:27]
	v_or_b32_e32 v5, 2.0, v23
	s_mov_b64 s[30:31], 0
	s_brev_b32 s38, -4
	s_mov_b32 s39, s6
	v_mov_b32_e32 v30, 0
	global_store_dword v[7:8], v5, off
                                        ; implicit-def: $sgpr26_sgpr27
	s_branch .LBB25_63
.LBB25_61:                              ;   in Loop: Header=BB25_63 Depth=1
	s_or_b64 exec, exec, s[36:37]
.LBB25_62:                              ;   in Loop: Header=BB25_63 Depth=1
	s_or_b64 exec, exec, s[34:35]
	v_and_b32_e32 v9, 0x3fffffff, v5
	v_add_u32_e32 v30, v9, v30
	v_cmp_gt_i32_e64 s[26:27], -2.0, v5
	s_and_b64 s[34:35], exec, s[26:27]
	s_or_b64 s[30:31], s[34:35], s[30:31]
	s_andn2_b64 exec, exec, s[30:31]
	s_cbranch_execz .LBB25_68
.LBB25_63:                              ; =>This Loop Header: Depth=1
                                        ;     Child Loop BB25_66 Depth 2
	s_or_b64 s[26:27], s[26:27], exec
	s_cmp_eq_u32 s39, 0
	s_cbranch_scc1 .LBB25_67
; %bb.64:                               ;   in Loop: Header=BB25_63 Depth=1
	s_add_i32 s39, s39, -1
	v_lshl_or_b32 v5, s39, 5, v0
	v_lshlrev_b64 v[9:10], 2, v[5:6]
	v_add_co_u32_e64 v9, s[26:27], s72, v9
	v_addc_co_u32_e64 v10, s[26:27], v21, v10, s[26:27]
	global_load_dword v5, v[9:10], off glc
	s_waitcnt vmcnt(0)
	v_cmp_gt_u32_e64 s[26:27], 2.0, v5
	s_and_saveexec_b64 s[34:35], s[26:27]
	s_cbranch_execz .LBB25_62
; %bb.65:                               ;   in Loop: Header=BB25_63 Depth=1
	s_mov_b64 s[36:37], 0
.LBB25_66:                              ;   Parent Loop BB25_63 Depth=1
                                        ; =>  This Inner Loop Header: Depth=2
	global_load_dword v5, v[9:10], off glc
	s_waitcnt vmcnt(0)
	v_cmp_lt_u32_e64 s[26:27], s38, v5
	s_or_b64 s[36:37], s[26:27], s[36:37]
	s_andn2_b64 exec, exec, s[36:37]
	s_cbranch_execnz .LBB25_66
	s_branch .LBB25_61
.LBB25_67:                              ;   in Loop: Header=BB25_63 Depth=1
                                        ; implicit-def: $sgpr39
	s_and_b64 s[34:35], exec, s[26:27]
	s_or_b64 s[30:31], s[34:35], s[30:31]
	s_andn2_b64 exec, exec, s[30:31]
	s_cbranch_execnz .LBB25_63
.LBB25_68:
	s_or_b64 exec, exec, s[30:31]
	v_add_u32_e32 v5, v30, v23
	v_or_b32_e32 v5, 0x80000000, v5
	global_store_dword v[7:8], v5, off
	global_load_dwordx2 v[5:6], v15, s[64:65]
	v_sub_co_u32_e64 v7, s[26:27], v30, v3
	v_subb_co_u32_e64 v8, s[26:27], 0, v4, s[26:27]
	s_waitcnt vmcnt(0)
	v_add_co_u32_e64 v5, s[26:27], v7, v5
	v_addc_co_u32_e64 v6, s[26:27], v8, v6, s[26:27]
	ds_write_b64 v15, v[5:6]
.LBB25_69:
	s_or_b64 exec, exec, s[28:29]
	v_cmp_gt_u32_e64 s[26:27], s75, v0
	s_waitcnt lgkmcnt(0)
	s_barrier
	s_and_saveexec_b64 s[30:31], s[26:27]
	s_cbranch_execz .LBB25_71
; %bb.70:
	v_sub_u32_e32 v5, v15, v12
	ds_read_b32 v7, v5 offset:256
	v_mov_b32_e32 v8, s59
	s_waitcnt lgkmcnt(0)
	v_lshrrev_b32_e32 v5, s68, v7
	v_and_b32_e32 v5, s33, v5
	v_lshlrev_b32_e32 v5, 3, v5
	ds_read_b64 v[5:6], v5
	v_xor_b32_e32 v7, 0x80000000, v7
	s_waitcnt lgkmcnt(0)
	v_lshlrev_b64 v[5:6], 2, v[5:6]
	v_add_co_u32_e64 v5, s[28:29], s58, v5
	v_addc_co_u32_e64 v6, s[28:29], v8, v6, s[28:29]
	v_add_co_u32_e64 v5, s[28:29], v5, v12
	v_addc_co_u32_e64 v6, s[28:29], 0, v6, s[28:29]
	global_store_dword v[5:6], v7, off
.LBB25_71:
	s_or_b64 exec, exec, s[30:31]
	v_or_b32_e32 v5, 0x200, v0
	v_cmp_gt_u32_e64 s[28:29], s75, v5
	s_and_saveexec_b64 s[34:35], s[28:29]
	s_cbranch_execz .LBB25_73
; %bb.72:
	v_sub_u32_e32 v5, v15, v12
	ds_read_b32 v7, v5 offset:2304
	v_mov_b32_e32 v8, s59
	s_waitcnt lgkmcnt(0)
	v_lshrrev_b32_e32 v5, s68, v7
	v_and_b32_e32 v5, s33, v5
	v_lshlrev_b32_e32 v5, 3, v5
	ds_read_b64 v[5:6], v5
	v_xor_b32_e32 v7, 0x80000000, v7
	s_waitcnt lgkmcnt(0)
	v_lshlrev_b64 v[5:6], 2, v[5:6]
	v_add_co_u32_e64 v5, s[30:31], s58, v5
	v_addc_co_u32_e64 v6, s[30:31], v8, v6, s[30:31]
	v_add_co_u32_e64 v5, s[30:31], v5, v12
	v_addc_co_u32_e64 v6, s[30:31], 0, v6, s[30:31]
	global_store_dword v[5:6], v7, off offset:2048
.LBB25_73:
	s_or_b64 exec, exec, s[34:35]
	v_or_b32_e32 v5, 0x400, v0
	v_cmp_gt_u32_e64 s[30:31], s75, v5
	v_lshlrev_b32_e32 v7, 2, v5
	s_and_saveexec_b64 s[36:37], s[30:31]
	s_cbranch_execz .LBB25_75
; %bb.74:
	v_sub_u32_e32 v5, v15, v12
	ds_read_b32 v8, v5 offset:4352
	v_mov_b32_e32 v9, s59
	s_waitcnt lgkmcnt(0)
	v_lshrrev_b32_e32 v5, s68, v8
	v_and_b32_e32 v5, s33, v5
	v_lshlrev_b32_e32 v5, 3, v5
	ds_read_b64 v[5:6], v5
	v_xor_b32_e32 v8, 0x80000000, v8
	s_waitcnt lgkmcnt(0)
	v_lshlrev_b64 v[5:6], 2, v[5:6]
	v_add_co_u32_e64 v5, s[34:35], s58, v5
	v_addc_co_u32_e64 v6, s[34:35], v9, v6, s[34:35]
	v_add_co_u32_e64 v5, s[34:35], v5, v7
	v_addc_co_u32_e64 v6, s[34:35], 0, v6, s[34:35]
	global_store_dword v[5:6], v8, off
.LBB25_75:
	s_or_b64 exec, exec, s[36:37]
	v_or_b32_e32 v5, 0x600, v0
	v_cmp_gt_u32_e64 s[34:35], s75, v5
	v_lshlrev_b32_e32 v8, 2, v5
	s_and_saveexec_b64 s[38:39], s[34:35]
	s_cbranch_execz .LBB25_77
; %bb.76:
	v_sub_u32_e32 v5, v15, v12
	ds_read_b32 v9, v5 offset:6400
	v_mov_b32_e32 v10, s59
	s_waitcnt lgkmcnt(0)
	v_lshrrev_b32_e32 v5, s68, v9
	v_and_b32_e32 v5, s33, v5
	v_lshlrev_b32_e32 v5, 3, v5
	ds_read_b64 v[5:6], v5
	v_xor_b32_e32 v9, 0x80000000, v9
	s_waitcnt lgkmcnt(0)
	v_lshlrev_b64 v[5:6], 2, v[5:6]
	v_add_co_u32_e64 v5, s[36:37], s58, v5
	v_addc_co_u32_e64 v6, s[36:37], v10, v6, s[36:37]
	v_add_co_u32_e64 v5, s[36:37], v5, v8
	v_addc_co_u32_e64 v6, s[36:37], 0, v6, s[36:37]
	global_store_dword v[5:6], v9, off
.LBB25_77:
	;; [unrolled: 24-line block ×7, first 2 shown]
	s_or_b64 exec, exec, s[48:49]
	v_or_b32_e32 v5, 0x1200, v0
	v_cmp_gt_u32_e64 s[46:47], s75, v5
	v_lshlrev_b32_e32 v32, 2, v5
	s_and_saveexec_b64 s[50:51], s[46:47]
	s_cbranch_execz .LBB25_89
; %bb.88:
	ds_read_b32 v33, v12 offset:18688
	v_mov_b32_e32 v34, s59
	s_waitcnt lgkmcnt(0)
	v_lshrrev_b32_e32 v5, s68, v33
	v_and_b32_e32 v5, s33, v5
	v_lshlrev_b32_e32 v5, 3, v5
	ds_read_b64 v[5:6], v5
	v_xor_b32_e32 v33, 0x80000000, v33
	s_waitcnt lgkmcnt(0)
	v_lshlrev_b64 v[5:6], 2, v[5:6]
	v_add_co_u32_e64 v5, s[48:49], s58, v5
	v_addc_co_u32_e64 v6, s[48:49], v34, v6, s[48:49]
	v_add_co_u32_e64 v5, s[48:49], v5, v32
	v_addc_co_u32_e64 v6, s[48:49], 0, v6, s[48:49]
	global_store_dword v[5:6], v33, off
.LBB25_89:
	s_or_b64 exec, exec, s[50:51]
	v_or_b32_e32 v5, 0x1400, v0
	v_cmp_gt_u32_e64 s[48:49], s75, v5
	v_lshlrev_b32_e32 v33, 2, v5
	s_and_saveexec_b64 s[54:55], s[48:49]
	s_cbranch_execz .LBB25_91
; %bb.90:
	ds_read_b32 v34, v12 offset:20736
	v_mov_b32_e32 v35, s59
	s_waitcnt lgkmcnt(0)
	v_lshrrev_b32_e32 v5, s68, v34
	v_and_b32_e32 v5, s33, v5
	v_lshlrev_b32_e32 v5, 3, v5
	ds_read_b64 v[5:6], v5
	v_xor_b32_e32 v34, 0x80000000, v34
	s_waitcnt lgkmcnt(0)
	v_lshlrev_b64 v[5:6], 2, v[5:6]
	v_add_co_u32_e64 v5, s[50:51], s58, v5
	v_addc_co_u32_e64 v6, s[50:51], v35, v6, s[50:51]
	v_add_co_u32_e64 v5, s[50:51], v5, v33
	v_addc_co_u32_e64 v6, s[50:51], 0, v6, s[50:51]
	global_store_dword v[5:6], v34, off
.LBB25_91:
	;; [unrolled: 23-line block ×3, first 2 shown]
	s_or_b64 exec, exec, s[76:77]
	s_add_u32 s54, s60, s70
	s_addc_u32 s55, s61, s71
	v_mov_b32_e32 v5, s55
	v_add_co_u32_e64 v6, s[54:55], s54, v13
	v_addc_co_u32_e64 v13, s[54:55], 0, v5, s[54:55]
	v_add_co_u32_e64 v5, s[54:55], v6, v14
	v_addc_co_u32_e64 v6, s[54:55], 0, v13, s[54:55]
                                        ; implicit-def: $vgpr13
	s_and_saveexec_b64 s[54:55], vcc
	s_xor_b64 s[54:55], exec, s[54:55]
	s_cbranch_execz .LBB25_105
; %bb.94:
	global_load_dword v13, v[5:6], off
	s_or_b64 exec, exec, s[54:55]
                                        ; implicit-def: $vgpr14
	s_and_saveexec_b64 s[54:55], s[0:1]
	s_cbranch_execnz .LBB25_106
.LBB25_95:
	s_or_b64 exec, exec, s[54:55]
                                        ; implicit-def: $vgpr35
	s_and_saveexec_b64 s[0:1], s[2:3]
	s_cbranch_execz .LBB25_107
.LBB25_96:
	global_load_dword v35, v[5:6], off offset:512
	s_or_b64 exec, exec, s[0:1]
                                        ; implicit-def: $vgpr36
	s_and_saveexec_b64 s[0:1], s[52:53]
	s_cbranch_execnz .LBB25_108
.LBB25_97:
	s_or_b64 exec, exec, s[0:1]
                                        ; implicit-def: $vgpr38
	s_and_saveexec_b64 s[0:1], s[8:9]
	s_cbranch_execz .LBB25_109
.LBB25_98:
	global_load_dword v38, v[5:6], off offset:1024
	s_or_b64 exec, exec, s[0:1]
                                        ; implicit-def: $vgpr40
	s_and_saveexec_b64 s[0:1], s[10:11]
	s_cbranch_execnz .LBB25_110
.LBB25_99:
	s_or_b64 exec, exec, s[0:1]
                                        ; implicit-def: $vgpr42
	s_and_saveexec_b64 s[0:1], s[12:13]
	s_cbranch_execz .LBB25_111
.LBB25_100:
	global_load_dword v42, v[5:6], off offset:1536
	s_or_b64 exec, exec, s[0:1]
                                        ; implicit-def: $vgpr45
	s_and_saveexec_b64 s[0:1], s[14:15]
	s_cbranch_execnz .LBB25_112
.LBB25_101:
	s_or_b64 exec, exec, s[0:1]
                                        ; implicit-def: $vgpr47
	s_and_saveexec_b64 s[0:1], s[16:17]
	s_cbranch_execz .LBB25_113
.LBB25_102:
	global_load_dword v47, v[5:6], off offset:2048
	s_or_b64 exec, exec, s[0:1]
                                        ; implicit-def: $vgpr49
	s_and_saveexec_b64 s[0:1], s[18:19]
	s_cbranch_execnz .LBB25_114
.LBB25_103:
	s_or_b64 exec, exec, s[0:1]
                                        ; implicit-def: $vgpr52
	s_and_saveexec_b64 s[0:1], s[20:21]
	s_cbranch_execz .LBB25_115
.LBB25_104:
	global_load_dword v52, v[5:6], off offset:2560
	s_or_b64 exec, exec, s[0:1]
                                        ; implicit-def: $vgpr53
	s_and_saveexec_b64 s[0:1], s[22:23]
	s_cbranch_execnz .LBB25_116
	s_branch .LBB25_117
.LBB25_105:
	s_or_b64 exec, exec, s[54:55]
                                        ; implicit-def: $vgpr14
	s_and_saveexec_b64 s[54:55], s[0:1]
	s_cbranch_execz .LBB25_95
.LBB25_106:
	global_load_dword v14, v[5:6], off offset:256
	s_or_b64 exec, exec, s[54:55]
                                        ; implicit-def: $vgpr35
	s_and_saveexec_b64 s[0:1], s[2:3]
	s_cbranch_execnz .LBB25_96
.LBB25_107:
	s_or_b64 exec, exec, s[0:1]
                                        ; implicit-def: $vgpr36
	s_and_saveexec_b64 s[0:1], s[52:53]
	s_cbranch_execz .LBB25_97
.LBB25_108:
	global_load_dword v36, v[5:6], off offset:768
	s_or_b64 exec, exec, s[0:1]
                                        ; implicit-def: $vgpr38
	s_and_saveexec_b64 s[0:1], s[8:9]
	s_cbranch_execnz .LBB25_98
.LBB25_109:
	s_or_b64 exec, exec, s[0:1]
                                        ; implicit-def: $vgpr40
	s_and_saveexec_b64 s[0:1], s[10:11]
	s_cbranch_execz .LBB25_99
.LBB25_110:
	global_load_dword v40, v[5:6], off offset:1280
	s_or_b64 exec, exec, s[0:1]
                                        ; implicit-def: $vgpr42
	s_and_saveexec_b64 s[0:1], s[12:13]
	s_cbranch_execnz .LBB25_100
.LBB25_111:
	s_or_b64 exec, exec, s[0:1]
                                        ; implicit-def: $vgpr45
	s_and_saveexec_b64 s[0:1], s[14:15]
	s_cbranch_execz .LBB25_101
.LBB25_112:
	global_load_dword v45, v[5:6], off offset:1792
	s_or_b64 exec, exec, s[0:1]
                                        ; implicit-def: $vgpr47
	s_and_saveexec_b64 s[0:1], s[16:17]
	s_cbranch_execnz .LBB25_102
.LBB25_113:
	s_or_b64 exec, exec, s[0:1]
                                        ; implicit-def: $vgpr49
	s_and_saveexec_b64 s[0:1], s[18:19]
	s_cbranch_execz .LBB25_103
.LBB25_114:
	global_load_dword v49, v[5:6], off offset:2304
	s_or_b64 exec, exec, s[0:1]
                                        ; implicit-def: $vgpr52
	s_and_saveexec_b64 s[0:1], s[20:21]
	s_cbranch_execnz .LBB25_104
.LBB25_115:
	s_or_b64 exec, exec, s[0:1]
                                        ; implicit-def: $vgpr53
	s_and_saveexec_b64 s[0:1], s[22:23]
	s_cbranch_execz .LBB25_117
.LBB25_116:
	global_load_dword v53, v[5:6], off offset:2816
.LBB25_117:
	s_or_b64 exec, exec, s[0:1]
	v_mov_b32_e32 v50, 0
	v_mov_b32_e32 v54, 0
	s_and_saveexec_b64 s[0:1], s[26:27]
	s_cbranch_execz .LBB25_119
; %bb.118:
	ds_read_b32 v5, v12 offset:256
	s_waitcnt lgkmcnt(0)
	v_lshrrev_b32_e32 v5, s68, v5
	v_and_b32_e32 v54, s33, v5
.LBB25_119:
	s_or_b64 exec, exec, s[0:1]
	s_and_saveexec_b64 s[0:1], s[28:29]
	s_cbranch_execz .LBB25_121
; %bb.120:
	ds_read_b32 v5, v12 offset:2304
	s_waitcnt lgkmcnt(0)
	v_lshrrev_b32_e32 v5, s68, v5
	v_and_b32_e32 v50, s33, v5
.LBB25_121:
	s_or_b64 exec, exec, s[0:1]
	v_mov_b32_e32 v46, 0
	v_mov_b32_e32 v51, 0
	s_and_saveexec_b64 s[0:1], s[30:31]
	s_cbranch_execz .LBB25_123
; %bb.122:
	ds_read_b32 v5, v12 offset:4352
	s_waitcnt lgkmcnt(0)
	v_lshrrev_b32_e32 v5, s68, v5
	v_and_b32_e32 v51, s33, v5
.LBB25_123:
	s_or_b64 exec, exec, s[0:1]
	s_and_saveexec_b64 s[0:1], s[34:35]
	s_cbranch_execz .LBB25_125
; %bb.124:
	ds_read_b32 v5, v12 offset:6400
	s_waitcnt lgkmcnt(0)
	v_lshrrev_b32_e32 v5, s68, v5
	v_and_b32_e32 v46, s33, v5
.LBB25_125:
	;; [unrolled: 20-line block ×6, first 2 shown]
	s_or_b64 exec, exec, s[0:1]
	s_waitcnt vmcnt(0)
	s_barrier
	ds_write_b32 v24, v13 offset:256
	ds_write_b32 v25, v14 offset:256
	;; [unrolled: 1-line block ×12, first 2 shown]
	s_waitcnt lgkmcnt(0)
	s_barrier
	s_and_saveexec_b64 s[0:1], s[26:27]
	s_cbranch_execz .LBB25_153
; %bb.142:
	v_lshlrev_b32_e32 v13, 3, v54
	ds_read_b64 v[13:14], v13
	ds_read_b32 v16, v12 offset:256
	v_mov_b32_e32 v17, s63
	s_waitcnt lgkmcnt(1)
	v_lshlrev_b64 v[13:14], 2, v[13:14]
	v_add_co_u32_e32 v13, vcc, s62, v13
	v_addc_co_u32_e32 v14, vcc, v17, v14, vcc
	v_add_co_u32_e32 v13, vcc, v13, v12
	v_addc_co_u32_e32 v14, vcc, 0, v14, vcc
	s_waitcnt lgkmcnt(0)
	global_store_dword v[13:14], v16, off
	s_or_b64 exec, exec, s[0:1]
	s_and_saveexec_b64 s[0:1], s[28:29]
	s_cbranch_execnz .LBB25_154
.LBB25_143:
	s_or_b64 exec, exec, s[0:1]
	s_and_saveexec_b64 s[0:1], s[30:31]
	s_cbranch_execz .LBB25_155
.LBB25_144:
	v_lshlrev_b32_e32 v13, 3, v51
	ds_read_b64 v[13:14], v13
	ds_read_b32 v16, v12 offset:4352
	v_mov_b32_e32 v17, s63
	s_waitcnt lgkmcnt(1)
	v_lshlrev_b64 v[13:14], 2, v[13:14]
	v_add_co_u32_e32 v13, vcc, s62, v13
	v_addc_co_u32_e32 v14, vcc, v17, v14, vcc
	v_add_co_u32_e32 v13, vcc, v13, v7
	v_addc_co_u32_e32 v14, vcc, 0, v14, vcc
	s_waitcnt lgkmcnt(0)
	global_store_dword v[13:14], v16, off
	s_or_b64 exec, exec, s[0:1]
	s_and_saveexec_b64 s[0:1], s[34:35]
	s_cbranch_execnz .LBB25_156
.LBB25_145:
	s_or_b64 exec, exec, s[0:1]
	s_and_saveexec_b64 s[0:1], s[36:37]
	s_cbranch_execz .LBB25_157
.LBB25_146:
	v_lshlrev_b32_e32 v7, 3, v48
	ds_read_b64 v[7:8], v7
	ds_read_b32 v13, v12 offset:8448
	v_mov_b32_e32 v14, s63
	s_waitcnt lgkmcnt(1)
	v_lshlrev_b64 v[7:8], 2, v[7:8]
	v_add_co_u32_e32 v7, vcc, s62, v7
	v_addc_co_u32_e32 v8, vcc, v14, v8, vcc
	v_add_co_u32_e32 v7, vcc, v7, v9
	v_addc_co_u32_e32 v8, vcc, 0, v8, vcc
	s_waitcnt lgkmcnt(0)
	global_store_dword v[7:8], v13, off
	s_or_b64 exec, exec, s[0:1]
	s_and_saveexec_b64 s[0:1], s[38:39]
	s_cbranch_execnz .LBB25_158
.LBB25_147:
	s_or_b64 exec, exec, s[0:1]
	s_and_saveexec_b64 s[0:1], s[40:41]
	s_cbranch_execz .LBB25_159
.LBB25_148:
	v_lshlrev_b32_e32 v7, 3, v44
	ds_read_b64 v[7:8], v7
	ds_read_b32 v9, v12 offset:12544
	v_mov_b32_e32 v10, s63
	s_waitcnt lgkmcnt(1)
	v_lshlrev_b64 v[7:8], 2, v[7:8]
	v_add_co_u32_e32 v7, vcc, s62, v7
	v_addc_co_u32_e32 v8, vcc, v10, v8, vcc
	v_add_co_u32_e32 v7, vcc, v7, v21
	v_addc_co_u32_e32 v8, vcc, 0, v8, vcc
	s_waitcnt lgkmcnt(0)
	global_store_dword v[7:8], v9, off
	s_or_b64 exec, exec, s[0:1]
	s_and_saveexec_b64 s[0:1], s[42:43]
	s_cbranch_execnz .LBB25_160
.LBB25_149:
	s_or_b64 exec, exec, s[0:1]
	s_and_saveexec_b64 s[0:1], s[44:45]
	s_cbranch_execz .LBB25_161
.LBB25_150:
	v_lshlrev_b32_e32 v7, 3, v41
	ds_read_b64 v[7:8], v7
	ds_read_b32 v9, v12 offset:16640
	v_mov_b32_e32 v10, s63
	s_waitcnt lgkmcnt(1)
	v_lshlrev_b64 v[7:8], 2, v[7:8]
	v_add_co_u32_e32 v7, vcc, s62, v7
	v_addc_co_u32_e32 v8, vcc, v10, v8, vcc
	v_add_co_u32_e32 v7, vcc, v7, v31
	v_addc_co_u32_e32 v8, vcc, 0, v8, vcc
	s_waitcnt lgkmcnt(0)
	global_store_dword v[7:8], v9, off
	s_or_b64 exec, exec, s[0:1]
	s_and_saveexec_b64 s[0:1], s[46:47]
	s_cbranch_execnz .LBB25_162
.LBB25_151:
	s_or_b64 exec, exec, s[0:1]
	s_and_saveexec_b64 s[0:1], s[48:49]
	s_cbranch_execz .LBB25_163
.LBB25_152:
	v_lshlrev_b32_e32 v6, 3, v37
	ds_read_b64 v[6:7], v6
	ds_read_b32 v8, v12 offset:20736
	v_mov_b32_e32 v9, s63
	s_waitcnt lgkmcnt(1)
	v_lshlrev_b64 v[6:7], 2, v[6:7]
	v_add_co_u32_e32 v6, vcc, s62, v6
	v_addc_co_u32_e32 v7, vcc, v9, v7, vcc
	v_add_co_u32_e32 v6, vcc, v6, v33
	v_addc_co_u32_e32 v7, vcc, 0, v7, vcc
	s_waitcnt lgkmcnt(0)
	global_store_dword v[6:7], v8, off
	s_or_b64 exec, exec, s[0:1]
	s_and_saveexec_b64 s[0:1], s[50:51]
	s_cbranch_execnz .LBB25_164
	s_branch .LBB25_165
.LBB25_153:
	s_or_b64 exec, exec, s[0:1]
	s_and_saveexec_b64 s[0:1], s[28:29]
	s_cbranch_execz .LBB25_143
.LBB25_154:
	v_lshlrev_b32_e32 v13, 3, v50
	ds_read_b64 v[13:14], v13
	ds_read_b32 v16, v12 offset:2304
	v_mov_b32_e32 v17, s63
	s_waitcnt lgkmcnt(1)
	v_lshlrev_b64 v[13:14], 2, v[13:14]
	v_add_co_u32_e32 v13, vcc, s62, v13
	v_addc_co_u32_e32 v14, vcc, v17, v14, vcc
	v_add_co_u32_e32 v13, vcc, v13, v12
	v_addc_co_u32_e32 v14, vcc, 0, v14, vcc
	s_waitcnt lgkmcnt(0)
	global_store_dword v[13:14], v16, off offset:2048
	s_or_b64 exec, exec, s[0:1]
	s_and_saveexec_b64 s[0:1], s[30:31]
	s_cbranch_execnz .LBB25_144
.LBB25_155:
	s_or_b64 exec, exec, s[0:1]
	s_and_saveexec_b64 s[0:1], s[34:35]
	s_cbranch_execz .LBB25_145
.LBB25_156:
	v_lshlrev_b32_e32 v7, 3, v46
	ds_read_b64 v[13:14], v7
	ds_read_b32 v16, v12 offset:6400
	v_mov_b32_e32 v7, s63
	s_waitcnt lgkmcnt(1)
	v_lshlrev_b64 v[13:14], 2, v[13:14]
	v_add_co_u32_e32 v13, vcc, s62, v13
	v_addc_co_u32_e32 v14, vcc, v7, v14, vcc
	v_add_co_u32_e32 v7, vcc, v13, v8
	v_addc_co_u32_e32 v8, vcc, 0, v14, vcc
	s_waitcnt lgkmcnt(0)
	global_store_dword v[7:8], v16, off
	s_or_b64 exec, exec, s[0:1]
	s_and_saveexec_b64 s[0:1], s[36:37]
	s_cbranch_execnz .LBB25_146
.LBB25_157:
	s_or_b64 exec, exec, s[0:1]
	s_and_saveexec_b64 s[0:1], s[38:39]
	s_cbranch_execz .LBB25_147
.LBB25_158:
	v_lshlrev_b32_e32 v7, 3, v43
	ds_read_b64 v[7:8], v7
	ds_read_b32 v9, v12 offset:10496
	v_mov_b32_e32 v13, s63
	s_waitcnt lgkmcnt(1)
	v_lshlrev_b64 v[7:8], 2, v[7:8]
	v_add_co_u32_e32 v7, vcc, s62, v7
	v_addc_co_u32_e32 v8, vcc, v13, v8, vcc
	v_add_co_u32_e32 v7, vcc, v7, v10
	v_addc_co_u32_e32 v8, vcc, 0, v8, vcc
	s_waitcnt lgkmcnt(0)
	global_store_dword v[7:8], v9, off
	s_or_b64 exec, exec, s[0:1]
	s_and_saveexec_b64 s[0:1], s[40:41]
	s_cbranch_execnz .LBB25_148
.LBB25_159:
	s_or_b64 exec, exec, s[0:1]
	s_and_saveexec_b64 s[0:1], s[42:43]
	s_cbranch_execz .LBB25_149
.LBB25_160:
	v_lshlrev_b32_e32 v7, 3, v39
	ds_read_b64 v[7:8], v7
	ds_read_b32 v9, v12 offset:14592
	v_mov_b32_e32 v10, s63
	s_waitcnt lgkmcnt(1)
	v_lshlrev_b64 v[7:8], 2, v[7:8]
	v_add_co_u32_e32 v7, vcc, s62, v7
	v_addc_co_u32_e32 v8, vcc, v10, v8, vcc
	v_add_co_u32_e32 v7, vcc, v7, v30
	v_addc_co_u32_e32 v8, vcc, 0, v8, vcc
	s_waitcnt lgkmcnt(0)
	global_store_dword v[7:8], v9, off
	s_or_b64 exec, exec, s[0:1]
	s_and_saveexec_b64 s[0:1], s[44:45]
	s_cbranch_execnz .LBB25_150
.LBB25_161:
	s_or_b64 exec, exec, s[0:1]
	s_and_saveexec_b64 s[0:1], s[46:47]
	s_cbranch_execz .LBB25_151
.LBB25_162:
	v_lshlrev_b32_e32 v6, 3, v6
	ds_read_b64 v[6:7], v6
	ds_read_b32 v8, v12 offset:18688
	v_mov_b32_e32 v9, s63
	s_waitcnt lgkmcnt(1)
	v_lshlrev_b64 v[6:7], 2, v[6:7]
	v_add_co_u32_e32 v6, vcc, s62, v6
	v_addc_co_u32_e32 v7, vcc, v9, v7, vcc
	v_add_co_u32_e32 v6, vcc, v6, v32
	v_addc_co_u32_e32 v7, vcc, 0, v7, vcc
	s_waitcnt lgkmcnt(0)
	global_store_dword v[6:7], v8, off
	s_or_b64 exec, exec, s[0:1]
	s_and_saveexec_b64 s[0:1], s[48:49]
	s_cbranch_execnz .LBB25_152
.LBB25_163:
	s_or_b64 exec, exec, s[0:1]
	s_and_saveexec_b64 s[0:1], s[50:51]
	s_cbranch_execz .LBB25_165
.LBB25_164:
	v_lshlrev_b32_e32 v5, 3, v5
	ds_read_b64 v[5:6], v5
	ds_read_b32 v7, v12 offset:22784
	v_mov_b32_e32 v8, s63
	s_waitcnt lgkmcnt(1)
	v_lshlrev_b64 v[5:6], 2, v[5:6]
	v_add_co_u32_e32 v5, vcc, s62, v5
	v_addc_co_u32_e32 v6, vcc, v8, v6, vcc
	v_add_co_u32_e32 v5, vcc, v5, v34
	v_addc_co_u32_e32 v6, vcc, 0, v6, vcc
	s_waitcnt lgkmcnt(0)
	global_store_dword v[5:6], v7, off
.LBB25_165:
	s_or_b64 exec, exec, s[0:1]
	s_add_i32 s7, s7, -1
	s_cmp_eq_u32 s6, s7
	s_cselect_b64 s[0:1], -1, 0
	s_xor_b64 s[2:3], s[24:25], -1
	s_and_b64 s[2:3], s[2:3], s[0:1]
	s_and_saveexec_b64 s[0:1], s[2:3]
	s_cbranch_execz .LBB25_167
; %bb.166:
	ds_read_b64 v[5:6], v15
	v_add_co_u32_e32 v3, vcc, v3, v23
	v_addc_co_u32_e32 v4, vcc, 0, v4, vcc
	s_waitcnt lgkmcnt(0)
	v_add_co_u32_e32 v3, vcc, v3, v5
	v_addc_co_u32_e32 v4, vcc, v4, v6, vcc
	global_store_dwordx2 v15, v[3:4], s[66:67]
.LBB25_167:
	s_or_b64 exec, exec, s[0:1]
	s_mov_b64 s[0:1], 0
.LBB25_168:
	s_and_b64 vcc, exec, s[0:1]
	s_cbranch_vccz .LBB25_215
; %bb.169:
	s_mov_b32 s75, 0
	s_lshl_b64 s[8:9], s[74:75], 2
	s_add_u32 s0, s56, s8
	v_mbcnt_hi_u32_b32 v5, -1, v11
	s_addc_u32 s1, s57, s9
	v_and_b32_e32 v7, 0x1c0, v0
	v_lshlrev_b32_e32 v10, 2, v5
	v_mul_u32_u24_e32 v4, 12, v7
	v_mov_b32_e32 v6, s1
	v_add_co_u32_e32 v8, vcc, s0, v10
	v_addc_co_u32_e32 v6, vcc, 0, v6, vcc
	v_lshlrev_b32_e32 v11, 2, v4
	v_add_co_u32_e32 v8, vcc, v8, v11
	v_addc_co_u32_e32 v9, vcc, 0, v6, vcc
	s_load_dword s7, s[4:5], 0x50
	s_load_dword s0, s[4:5], 0x5c
	global_load_dword v4, v[8:9], off
	s_add_u32 s1, s4, 0x50
	s_addc_u32 s2, s5, 0
	v_mov_b32_e32 v3, 0
	s_waitcnt lgkmcnt(0)
	s_lshr_b32 s3, s0, 16
	s_cmp_lt_u32 s6, s7
	s_cselect_b32 s0, 12, 18
	s_add_u32 s0, s1, s0
	s_addc_u32 s1, s2, 0
	global_load_ushort v13, v3, s[0:1]
	global_load_dword v12, v[8:9], off offset:256
	global_load_dword v15, v[8:9], off offset:512
	;; [unrolled: 1-line block ×11, first 2 shown]
	s_lshl_b32 s0, -1, s69
	v_mad_u32_u24 v1, v2, s3, v1
	s_not_b32 s14, s0
	v_lshlrev_b32_e32 v9, 2, v0
	ds_write_b32 v9, v3 offset:32
	s_waitcnt vmcnt(0) lgkmcnt(0)
	s_barrier
	; wave barrier
	v_xor_b32_e32 v6, 0x80000000, v4
	v_lshrrev_b32_e32 v2, s68, v6
	v_and_b32_e32 v8, s14, v2
	v_mad_u64_u32 v[1:2], s[0:1], v1, v13, v[0:1]
	v_and_b32_e32 v13, 1, v8
	v_add_co_u32_e32 v14, vcc, -1, v13
	v_lshlrev_b32_e32 v4, 30, v8
	v_addc_co_u32_e64 v16, s[0:1], 0, -1, vcc
	v_mul_lo_u32 v2, v8, 36
	v_cmp_ne_u32_e32 vcc, 0, v13
	v_cmp_gt_i64_e64 s[0:1], 0, v[3:4]
	v_not_b32_e32 v13, v4
	v_lshlrev_b32_e32 v4, 29, v8
	v_xor_b32_e32 v16, vcc_hi, v16
	v_xor_b32_e32 v14, vcc_lo, v14
	v_ashrrev_i32_e32 v13, 31, v13
	v_cmp_gt_i64_e32 vcc, 0, v[3:4]
	v_not_b32_e32 v17, v4
	v_lshlrev_b32_e32 v4, 28, v8
	v_and_b32_e32 v16, exec_hi, v16
	v_and_b32_e32 v14, exec_lo, v14
	v_xor_b32_e32 v19, s1, v13
	v_xor_b32_e32 v13, s0, v13
	v_ashrrev_i32_e32 v17, 31, v17
	v_cmp_gt_i64_e64 s[0:1], 0, v[3:4]
	v_not_b32_e32 v21, v4
	v_lshlrev_b32_e32 v4, 27, v8
	v_lshrrev_b32_e32 v23, 6, v1
	v_and_b32_e32 v1, v16, v19
	v_and_b32_e32 v8, v14, v13
	v_xor_b32_e32 v13, vcc_hi, v17
	v_xor_b32_e32 v16, vcc_lo, v17
	v_ashrrev_i32_e32 v17, 31, v21
	v_cmp_gt_i64_e32 vcc, 0, v[3:4]
	v_not_b32_e32 v4, v4
	v_lshl_add_u32 v14, v23, 2, v2
	v_and_b32_e32 v1, v1, v13
	v_and_b32_e32 v2, v8, v16
	v_xor_b32_e32 v8, s1, v17
	v_xor_b32_e32 v13, s0, v17
	v_ashrrev_i32_e32 v4, 31, v4
	v_and_b32_e32 v1, v1, v8
	v_and_b32_e32 v8, v2, v13
	v_xor_b32_e32 v2, vcc_hi, v4
	v_xor_b32_e32 v4, vcc_lo, v4
	v_and_b32_e32 v2, v1, v2
	v_and_b32_e32 v1, v8, v4
	v_mbcnt_lo_u32_b32 v4, v1, 0
	v_mbcnt_hi_u32_b32 v8, v2, v4
	v_cmp_ne_u64_e32 vcc, 0, v[1:2]
	v_cmp_eq_u32_e64 s[0:1], 0, v8
	s_and_b64 s[2:3], vcc, s[0:1]
	s_and_saveexec_b64 s[0:1], s[2:3]
; %bb.170:
	v_bcnt_u32_b32 v1, v1, 0
	v_bcnt_u32_b32 v1, v2, v1
	ds_write_b32 v14, v1 offset:32
; %bb.171:
	s_or_b64 exec, exec, s[0:1]
	v_xor_b32_e32 v12, 0x80000000, v12
	v_lshrrev_b32_e32 v1, s68, v12
	v_and_b32_e32 v1, s14, v1
	v_mul_lo_u32 v2, v1, 36
	v_and_b32_e32 v4, 1, v1
	; wave barrier
	v_lshl_add_u32 v16, v23, 2, v2
	v_add_co_u32_e32 v2, vcc, -1, v4
	v_addc_co_u32_e64 v17, s[0:1], 0, -1, vcc
	v_cmp_ne_u32_e32 vcc, 0, v4
	v_xor_b32_e32 v4, vcc_hi, v17
	v_and_b32_e32 v17, exec_hi, v4
	v_lshlrev_b32_e32 v4, 30, v1
	v_xor_b32_e32 v2, vcc_lo, v2
	v_cmp_gt_i64_e32 vcc, 0, v[3:4]
	v_not_b32_e32 v4, v4
	v_ashrrev_i32_e32 v4, 31, v4
	v_and_b32_e32 v2, exec_lo, v2
	v_xor_b32_e32 v19, vcc_hi, v4
	v_xor_b32_e32 v4, vcc_lo, v4
	v_and_b32_e32 v2, v2, v4
	v_lshlrev_b32_e32 v4, 29, v1
	v_cmp_gt_i64_e32 vcc, 0, v[3:4]
	v_not_b32_e32 v4, v4
	v_ashrrev_i32_e32 v4, 31, v4
	v_and_b32_e32 v17, v17, v19
	v_xor_b32_e32 v19, vcc_hi, v4
	v_xor_b32_e32 v4, vcc_lo, v4
	v_and_b32_e32 v2, v2, v4
	v_lshlrev_b32_e32 v4, 28, v1
	v_cmp_gt_i64_e32 vcc, 0, v[3:4]
	v_not_b32_e32 v4, v4
	v_ashrrev_i32_e32 v4, 31, v4
	v_and_b32_e32 v17, v17, v19
	v_xor_b32_e32 v19, vcc_hi, v4
	v_xor_b32_e32 v4, vcc_lo, v4
	v_and_b32_e32 v17, v17, v19
	v_and_b32_e32 v19, v2, v4
	v_lshlrev_b32_e32 v4, 27, v1
	v_cmp_gt_i64_e32 vcc, 0, v[3:4]
	v_not_b32_e32 v1, v4
	v_ashrrev_i32_e32 v1, 31, v1
	v_xor_b32_e32 v2, vcc_hi, v1
	v_xor_b32_e32 v1, vcc_lo, v1
	ds_read_b32 v13, v16 offset:32
	v_and_b32_e32 v1, v19, v1
	v_and_b32_e32 v2, v17, v2
	v_mbcnt_lo_u32_b32 v3, v1, 0
	v_mbcnt_hi_u32_b32 v4, v2, v3
	v_cmp_ne_u64_e32 vcc, 0, v[1:2]
	v_cmp_eq_u32_e64 s[0:1], 0, v4
	s_and_b64 s[2:3], vcc, s[0:1]
	; wave barrier
	s_and_saveexec_b64 s[0:1], s[2:3]
	s_cbranch_execz .LBB25_173
; %bb.172:
	v_bcnt_u32_b32 v1, v1, 0
	v_bcnt_u32_b32 v1, v2, v1
	s_waitcnt lgkmcnt(0)
	v_add_u32_e32 v1, v13, v1
	ds_write_b32 v16, v1 offset:32
.LBB25_173:
	s_or_b64 exec, exec, s[0:1]
	v_xor_b32_e32 v15, 0x80000000, v15
	v_lshrrev_b32_e32 v1, s68, v15
	v_and_b32_e32 v3, s14, v1
	v_mul_lo_u32 v1, v3, 36
	v_and_b32_e32 v2, 1, v3
	v_add_co_u32_e32 v19, vcc, -1, v2
	v_addc_co_u32_e64 v22, s[0:1], 0, -1, vcc
	v_cmp_ne_u32_e32 vcc, 0, v2
	v_xor_b32_e32 v2, vcc_hi, v22
	v_lshl_add_u32 v21, v23, 2, v1
	v_mov_b32_e32 v1, 0
	v_and_b32_e32 v22, exec_hi, v2
	v_lshlrev_b32_e32 v2, 30, v3
	v_xor_b32_e32 v19, vcc_lo, v19
	v_cmp_gt_i64_e32 vcc, 0, v[1:2]
	v_not_b32_e32 v2, v2
	v_ashrrev_i32_e32 v2, 31, v2
	v_and_b32_e32 v19, exec_lo, v19
	v_xor_b32_e32 v25, vcc_hi, v2
	v_xor_b32_e32 v2, vcc_lo, v2
	v_and_b32_e32 v19, v19, v2
	v_lshlrev_b32_e32 v2, 29, v3
	v_cmp_gt_i64_e32 vcc, 0, v[1:2]
	v_not_b32_e32 v2, v2
	v_ashrrev_i32_e32 v2, 31, v2
	v_and_b32_e32 v22, v22, v25
	v_xor_b32_e32 v25, vcc_hi, v2
	v_xor_b32_e32 v2, vcc_lo, v2
	v_and_b32_e32 v19, v19, v2
	v_lshlrev_b32_e32 v2, 28, v3
	v_cmp_gt_i64_e32 vcc, 0, v[1:2]
	v_not_b32_e32 v2, v2
	v_ashrrev_i32_e32 v2, 31, v2
	v_and_b32_e32 v22, v22, v25
	v_xor_b32_e32 v25, vcc_hi, v2
	v_xor_b32_e32 v2, vcc_lo, v2
	v_and_b32_e32 v19, v19, v2
	v_lshlrev_b32_e32 v2, 27, v3
	v_cmp_gt_i64_e32 vcc, 0, v[1:2]
	v_not_b32_e32 v2, v2
	v_ashrrev_i32_e32 v2, 31, v2
	v_xor_b32_e32 v3, vcc_hi, v2
	v_xor_b32_e32 v2, vcc_lo, v2
	; wave barrier
	ds_read_b32 v17, v21 offset:32
	v_and_b32_e32 v22, v22, v25
	v_and_b32_e32 v2, v19, v2
	;; [unrolled: 1-line block ×3, first 2 shown]
	v_mbcnt_lo_u32_b32 v19, v2, 0
	v_mbcnt_hi_u32_b32 v19, v3, v19
	v_cmp_ne_u64_e32 vcc, 0, v[2:3]
	v_cmp_eq_u32_e64 s[0:1], 0, v19
	s_and_b64 s[2:3], vcc, s[0:1]
	; wave barrier
	s_and_saveexec_b64 s[0:1], s[2:3]
	s_cbranch_execz .LBB25_175
; %bb.174:
	v_bcnt_u32_b32 v2, v2, 0
	v_bcnt_u32_b32 v2, v3, v2
	s_waitcnt lgkmcnt(0)
	v_add_u32_e32 v2, v17, v2
	ds_write_b32 v21, v2 offset:32
.LBB25_175:
	s_or_b64 exec, exec, s[0:1]
	v_xor_b32_e32 v20, 0x80000000, v20
	v_lshrrev_b32_e32 v2, s68, v20
	v_and_b32_e32 v3, s14, v2
	v_mul_lo_u32 v2, v3, 36
	v_and_b32_e32 v25, 1, v3
	; wave barrier
	v_lshl_add_u32 v27, v23, 2, v2
	v_add_co_u32_e32 v2, vcc, -1, v25
	v_addc_co_u32_e64 v28, s[0:1], 0, -1, vcc
	v_cmp_ne_u32_e32 vcc, 0, v25
	v_xor_b32_e32 v2, vcc_lo, v2
	v_xor_b32_e32 v25, vcc_hi, v28
	v_and_b32_e32 v28, exec_lo, v2
	v_lshlrev_b32_e32 v2, 30, v3
	v_cmp_gt_i64_e32 vcc, 0, v[1:2]
	v_not_b32_e32 v2, v2
	v_ashrrev_i32_e32 v2, 31, v2
	v_xor_b32_e32 v30, vcc_hi, v2
	v_xor_b32_e32 v2, vcc_lo, v2
	v_and_b32_e32 v28, v28, v2
	v_lshlrev_b32_e32 v2, 29, v3
	v_cmp_gt_i64_e32 vcc, 0, v[1:2]
	v_not_b32_e32 v2, v2
	v_and_b32_e32 v25, exec_hi, v25
	v_ashrrev_i32_e32 v2, 31, v2
	v_and_b32_e32 v25, v25, v30
	v_xor_b32_e32 v30, vcc_hi, v2
	v_xor_b32_e32 v2, vcc_lo, v2
	v_and_b32_e32 v28, v28, v2
	v_lshlrev_b32_e32 v2, 28, v3
	v_cmp_gt_i64_e32 vcc, 0, v[1:2]
	v_not_b32_e32 v2, v2
	v_ashrrev_i32_e32 v2, 31, v2
	v_and_b32_e32 v25, v25, v30
	v_xor_b32_e32 v30, vcc_hi, v2
	v_xor_b32_e32 v2, vcc_lo, v2
	v_and_b32_e32 v28, v28, v2
	v_lshlrev_b32_e32 v2, 27, v3
	v_cmp_gt_i64_e32 vcc, 0, v[1:2]
	v_not_b32_e32 v1, v2
	v_ashrrev_i32_e32 v1, 31, v1
	v_xor_b32_e32 v2, vcc_hi, v1
	v_xor_b32_e32 v1, vcc_lo, v1
	ds_read_b32 v22, v27 offset:32
	v_and_b32_e32 v25, v25, v30
	v_and_b32_e32 v1, v28, v1
	;; [unrolled: 1-line block ×3, first 2 shown]
	v_mbcnt_lo_u32_b32 v3, v1, 0
	v_mbcnt_hi_u32_b32 v25, v2, v3
	v_cmp_ne_u64_e32 vcc, 0, v[1:2]
	v_cmp_eq_u32_e64 s[0:1], 0, v25
	s_and_b64 s[2:3], vcc, s[0:1]
	; wave barrier
	s_and_saveexec_b64 s[0:1], s[2:3]
	s_cbranch_execz .LBB25_177
; %bb.176:
	v_bcnt_u32_b32 v1, v1, 0
	v_bcnt_u32_b32 v1, v2, v1
	s_waitcnt lgkmcnt(0)
	v_add_u32_e32 v1, v22, v1
	ds_write_b32 v27, v1 offset:32
.LBB25_177:
	s_or_b64 exec, exec, s[0:1]
	v_xor_b32_e32 v26, 0x80000000, v26
	v_lshrrev_b32_e32 v1, s68, v26
	v_and_b32_e32 v3, s14, v1
	v_mul_lo_u32 v1, v3, 36
	v_and_b32_e32 v2, 1, v3
	v_add_co_u32_e32 v30, vcc, -1, v2
	v_addc_co_u32_e64 v33, s[0:1], 0, -1, vcc
	v_cmp_ne_u32_e32 vcc, 0, v2
	v_xor_b32_e32 v2, vcc_hi, v33
	v_lshl_add_u32 v32, v23, 2, v1
	v_mov_b32_e32 v1, 0
	v_and_b32_e32 v33, exec_hi, v2
	v_lshlrev_b32_e32 v2, 30, v3
	v_xor_b32_e32 v30, vcc_lo, v30
	v_cmp_gt_i64_e32 vcc, 0, v[1:2]
	v_not_b32_e32 v2, v2
	v_ashrrev_i32_e32 v2, 31, v2
	v_and_b32_e32 v30, exec_lo, v30
	v_xor_b32_e32 v35, vcc_hi, v2
	v_xor_b32_e32 v2, vcc_lo, v2
	v_and_b32_e32 v30, v30, v2
	v_lshlrev_b32_e32 v2, 29, v3
	v_cmp_gt_i64_e32 vcc, 0, v[1:2]
	v_not_b32_e32 v2, v2
	v_ashrrev_i32_e32 v2, 31, v2
	v_and_b32_e32 v33, v33, v35
	v_xor_b32_e32 v35, vcc_hi, v2
	v_xor_b32_e32 v2, vcc_lo, v2
	v_and_b32_e32 v30, v30, v2
	v_lshlrev_b32_e32 v2, 28, v3
	v_cmp_gt_i64_e32 vcc, 0, v[1:2]
	v_not_b32_e32 v2, v2
	v_ashrrev_i32_e32 v2, 31, v2
	v_and_b32_e32 v33, v33, v35
	v_xor_b32_e32 v35, vcc_hi, v2
	v_xor_b32_e32 v2, vcc_lo, v2
	v_and_b32_e32 v30, v30, v2
	v_lshlrev_b32_e32 v2, 27, v3
	v_cmp_gt_i64_e32 vcc, 0, v[1:2]
	v_not_b32_e32 v2, v2
	v_ashrrev_i32_e32 v2, 31, v2
	v_xor_b32_e32 v3, vcc_hi, v2
	v_xor_b32_e32 v2, vcc_lo, v2
	; wave barrier
	ds_read_b32 v28, v32 offset:32
	v_and_b32_e32 v33, v33, v35
	v_and_b32_e32 v2, v30, v2
	v_and_b32_e32 v3, v33, v3
	v_mbcnt_lo_u32_b32 v30, v2, 0
	v_mbcnt_hi_u32_b32 v30, v3, v30
	v_cmp_ne_u64_e32 vcc, 0, v[2:3]
	v_cmp_eq_u32_e64 s[0:1], 0, v30
	s_and_b64 s[2:3], vcc, s[0:1]
	; wave barrier
	s_and_saveexec_b64 s[0:1], s[2:3]
	s_cbranch_execz .LBB25_179
; %bb.178:
	v_bcnt_u32_b32 v2, v2, 0
	v_bcnt_u32_b32 v2, v3, v2
	s_waitcnt lgkmcnt(0)
	v_add_u32_e32 v2, v28, v2
	ds_write_b32 v32, v2 offset:32
.LBB25_179:
	s_or_b64 exec, exec, s[0:1]
	v_xor_b32_e32 v31, 0x80000000, v31
	v_lshrrev_b32_e32 v2, s68, v31
	v_and_b32_e32 v3, s14, v2
	v_mul_lo_u32 v2, v3, 36
	v_and_b32_e32 v35, 1, v3
	; wave barrier
	v_lshl_add_u32 v37, v23, 2, v2
	v_add_co_u32_e32 v2, vcc, -1, v35
	v_addc_co_u32_e64 v38, s[0:1], 0, -1, vcc
	v_cmp_ne_u32_e32 vcc, 0, v35
	v_xor_b32_e32 v2, vcc_lo, v2
	v_xor_b32_e32 v35, vcc_hi, v38
	v_and_b32_e32 v38, exec_lo, v2
	v_lshlrev_b32_e32 v2, 30, v3
	v_cmp_gt_i64_e32 vcc, 0, v[1:2]
	v_not_b32_e32 v2, v2
	v_ashrrev_i32_e32 v2, 31, v2
	v_xor_b32_e32 v39, vcc_hi, v2
	v_xor_b32_e32 v2, vcc_lo, v2
	v_and_b32_e32 v38, v38, v2
	v_lshlrev_b32_e32 v2, 29, v3
	v_cmp_gt_i64_e32 vcc, 0, v[1:2]
	v_not_b32_e32 v2, v2
	v_and_b32_e32 v35, exec_hi, v35
	v_ashrrev_i32_e32 v2, 31, v2
	v_and_b32_e32 v35, v35, v39
	v_xor_b32_e32 v39, vcc_hi, v2
	v_xor_b32_e32 v2, vcc_lo, v2
	v_and_b32_e32 v38, v38, v2
	v_lshlrev_b32_e32 v2, 28, v3
	v_cmp_gt_i64_e32 vcc, 0, v[1:2]
	v_not_b32_e32 v2, v2
	v_ashrrev_i32_e32 v2, 31, v2
	v_and_b32_e32 v35, v35, v39
	v_xor_b32_e32 v39, vcc_hi, v2
	v_xor_b32_e32 v2, vcc_lo, v2
	v_and_b32_e32 v38, v38, v2
	v_lshlrev_b32_e32 v2, 27, v3
	v_cmp_gt_i64_e32 vcc, 0, v[1:2]
	v_not_b32_e32 v1, v2
	v_ashrrev_i32_e32 v1, 31, v1
	v_xor_b32_e32 v2, vcc_hi, v1
	v_xor_b32_e32 v1, vcc_lo, v1
	ds_read_b32 v33, v37 offset:32
	v_and_b32_e32 v35, v35, v39
	v_and_b32_e32 v1, v38, v1
	;; [unrolled: 1-line block ×3, first 2 shown]
	v_mbcnt_lo_u32_b32 v3, v1, 0
	v_mbcnt_hi_u32_b32 v35, v2, v3
	v_cmp_ne_u64_e32 vcc, 0, v[1:2]
	v_cmp_eq_u32_e64 s[0:1], 0, v35
	s_and_b64 s[2:3], vcc, s[0:1]
	; wave barrier
	s_and_saveexec_b64 s[0:1], s[2:3]
	s_cbranch_execz .LBB25_181
; %bb.180:
	v_bcnt_u32_b32 v1, v1, 0
	v_bcnt_u32_b32 v1, v2, v1
	s_waitcnt lgkmcnt(0)
	v_add_u32_e32 v1, v33, v1
	ds_write_b32 v37, v1 offset:32
.LBB25_181:
	s_or_b64 exec, exec, s[0:1]
	v_xor_b32_e32 v36, 0x80000000, v36
	v_lshrrev_b32_e32 v1, s68, v36
	v_and_b32_e32 v3, s14, v1
	v_mul_lo_u32 v1, v3, 36
	v_and_b32_e32 v2, 1, v3
	v_add_co_u32_e32 v39, vcc, -1, v2
	v_addc_co_u32_e64 v41, s[0:1], 0, -1, vcc
	v_cmp_ne_u32_e32 vcc, 0, v2
	v_xor_b32_e32 v2, vcc_hi, v41
	v_lshl_add_u32 v42, v23, 2, v1
	v_mov_b32_e32 v1, 0
	v_and_b32_e32 v41, exec_hi, v2
	v_lshlrev_b32_e32 v2, 30, v3
	v_xor_b32_e32 v39, vcc_lo, v39
	v_cmp_gt_i64_e32 vcc, 0, v[1:2]
	v_not_b32_e32 v2, v2
	v_ashrrev_i32_e32 v2, 31, v2
	v_and_b32_e32 v39, exec_lo, v39
	v_xor_b32_e32 v43, vcc_hi, v2
	v_xor_b32_e32 v2, vcc_lo, v2
	v_and_b32_e32 v39, v39, v2
	v_lshlrev_b32_e32 v2, 29, v3
	v_cmp_gt_i64_e32 vcc, 0, v[1:2]
	v_not_b32_e32 v2, v2
	v_ashrrev_i32_e32 v2, 31, v2
	v_and_b32_e32 v41, v41, v43
	v_xor_b32_e32 v43, vcc_hi, v2
	v_xor_b32_e32 v2, vcc_lo, v2
	v_and_b32_e32 v39, v39, v2
	v_lshlrev_b32_e32 v2, 28, v3
	v_cmp_gt_i64_e32 vcc, 0, v[1:2]
	v_not_b32_e32 v2, v2
	v_ashrrev_i32_e32 v2, 31, v2
	v_and_b32_e32 v41, v41, v43
	v_xor_b32_e32 v43, vcc_hi, v2
	v_xor_b32_e32 v2, vcc_lo, v2
	v_and_b32_e32 v39, v39, v2
	v_lshlrev_b32_e32 v2, 27, v3
	v_cmp_gt_i64_e32 vcc, 0, v[1:2]
	v_not_b32_e32 v2, v2
	v_ashrrev_i32_e32 v2, 31, v2
	v_xor_b32_e32 v3, vcc_hi, v2
	v_xor_b32_e32 v2, vcc_lo, v2
	; wave barrier
	ds_read_b32 v38, v42 offset:32
	v_and_b32_e32 v41, v41, v43
	v_and_b32_e32 v2, v39, v2
	v_and_b32_e32 v3, v41, v3
	v_mbcnt_lo_u32_b32 v39, v2, 0
	v_mbcnt_hi_u32_b32 v39, v3, v39
	v_cmp_ne_u64_e32 vcc, 0, v[2:3]
	v_cmp_eq_u32_e64 s[0:1], 0, v39
	s_and_b64 s[2:3], vcc, s[0:1]
	; wave barrier
	s_and_saveexec_b64 s[0:1], s[2:3]
	s_cbranch_execz .LBB25_183
; %bb.182:
	v_bcnt_u32_b32 v2, v2, 0
	v_bcnt_u32_b32 v2, v3, v2
	s_waitcnt lgkmcnt(0)
	v_add_u32_e32 v2, v38, v2
	ds_write_b32 v42, v2 offset:32
.LBB25_183:
	s_or_b64 exec, exec, s[0:1]
	v_xor_b32_e32 v40, 0x80000000, v40
	v_lshrrev_b32_e32 v2, s68, v40
	v_and_b32_e32 v3, s14, v2
	v_mul_lo_u32 v2, v3, 36
	v_and_b32_e32 v43, 1, v3
	; wave barrier
	v_lshl_add_u32 v45, v23, 2, v2
	v_add_co_u32_e32 v2, vcc, -1, v43
	v_addc_co_u32_e64 v44, s[0:1], 0, -1, vcc
	v_cmp_ne_u32_e32 vcc, 0, v43
	v_xor_b32_e32 v2, vcc_lo, v2
	v_xor_b32_e32 v43, vcc_hi, v44
	v_and_b32_e32 v44, exec_lo, v2
	v_lshlrev_b32_e32 v2, 30, v3
	v_cmp_gt_i64_e32 vcc, 0, v[1:2]
	v_not_b32_e32 v2, v2
	v_ashrrev_i32_e32 v2, 31, v2
	v_xor_b32_e32 v46, vcc_hi, v2
	v_xor_b32_e32 v2, vcc_lo, v2
	v_and_b32_e32 v44, v44, v2
	v_lshlrev_b32_e32 v2, 29, v3
	v_cmp_gt_i64_e32 vcc, 0, v[1:2]
	v_not_b32_e32 v2, v2
	v_and_b32_e32 v43, exec_hi, v43
	v_ashrrev_i32_e32 v2, 31, v2
	v_and_b32_e32 v43, v43, v46
	v_xor_b32_e32 v46, vcc_hi, v2
	v_xor_b32_e32 v2, vcc_lo, v2
	v_and_b32_e32 v44, v44, v2
	v_lshlrev_b32_e32 v2, 28, v3
	v_cmp_gt_i64_e32 vcc, 0, v[1:2]
	v_not_b32_e32 v2, v2
	v_ashrrev_i32_e32 v2, 31, v2
	v_and_b32_e32 v43, v43, v46
	v_xor_b32_e32 v46, vcc_hi, v2
	v_xor_b32_e32 v2, vcc_lo, v2
	v_and_b32_e32 v44, v44, v2
	v_lshlrev_b32_e32 v2, 27, v3
	v_cmp_gt_i64_e32 vcc, 0, v[1:2]
	v_not_b32_e32 v1, v2
	v_ashrrev_i32_e32 v1, 31, v1
	v_xor_b32_e32 v2, vcc_hi, v1
	v_xor_b32_e32 v1, vcc_lo, v1
	ds_read_b32 v41, v45 offset:32
	v_and_b32_e32 v43, v43, v46
	v_and_b32_e32 v1, v44, v1
	;; [unrolled: 1-line block ×3, first 2 shown]
	v_mbcnt_lo_u32_b32 v3, v1, 0
	v_mbcnt_hi_u32_b32 v43, v2, v3
	v_cmp_ne_u64_e32 vcc, 0, v[1:2]
	v_cmp_eq_u32_e64 s[0:1], 0, v43
	s_and_b64 s[2:3], vcc, s[0:1]
	; wave barrier
	s_and_saveexec_b64 s[0:1], s[2:3]
	s_cbranch_execz .LBB25_185
; %bb.184:
	v_bcnt_u32_b32 v1, v1, 0
	v_bcnt_u32_b32 v1, v2, v1
	s_waitcnt lgkmcnt(0)
	v_add_u32_e32 v1, v41, v1
	ds_write_b32 v45, v1 offset:32
.LBB25_185:
	s_or_b64 exec, exec, s[0:1]
	v_xor_b32_e32 v34, 0x80000000, v34
	v_lshrrev_b32_e32 v1, s68, v34
	v_and_b32_e32 v3, s14, v1
	v_mul_lo_u32 v1, v3, 36
	v_and_b32_e32 v2, 1, v3
	v_add_co_u32_e32 v46, vcc, -1, v2
	v_addc_co_u32_e64 v47, s[0:1], 0, -1, vcc
	v_cmp_ne_u32_e32 vcc, 0, v2
	v_xor_b32_e32 v2, vcc_hi, v47
	v_lshl_add_u32 v48, v23, 2, v1
	v_mov_b32_e32 v1, 0
	v_and_b32_e32 v47, exec_hi, v2
	v_lshlrev_b32_e32 v2, 30, v3
	v_xor_b32_e32 v46, vcc_lo, v46
	v_cmp_gt_i64_e32 vcc, 0, v[1:2]
	v_not_b32_e32 v2, v2
	v_ashrrev_i32_e32 v2, 31, v2
	v_and_b32_e32 v46, exec_lo, v46
	v_xor_b32_e32 v49, vcc_hi, v2
	v_xor_b32_e32 v2, vcc_lo, v2
	v_and_b32_e32 v46, v46, v2
	v_lshlrev_b32_e32 v2, 29, v3
	v_cmp_gt_i64_e32 vcc, 0, v[1:2]
	v_not_b32_e32 v2, v2
	v_ashrrev_i32_e32 v2, 31, v2
	v_and_b32_e32 v47, v47, v49
	v_xor_b32_e32 v49, vcc_hi, v2
	v_xor_b32_e32 v2, vcc_lo, v2
	v_and_b32_e32 v46, v46, v2
	v_lshlrev_b32_e32 v2, 28, v3
	v_cmp_gt_i64_e32 vcc, 0, v[1:2]
	v_not_b32_e32 v2, v2
	v_ashrrev_i32_e32 v2, 31, v2
	v_and_b32_e32 v47, v47, v49
	v_xor_b32_e32 v49, vcc_hi, v2
	v_xor_b32_e32 v2, vcc_lo, v2
	v_and_b32_e32 v46, v46, v2
	v_lshlrev_b32_e32 v2, 27, v3
	v_cmp_gt_i64_e32 vcc, 0, v[1:2]
	v_not_b32_e32 v2, v2
	v_ashrrev_i32_e32 v2, 31, v2
	v_xor_b32_e32 v3, vcc_hi, v2
	v_xor_b32_e32 v2, vcc_lo, v2
	; wave barrier
	ds_read_b32 v44, v48 offset:32
	v_and_b32_e32 v47, v47, v49
	v_and_b32_e32 v2, v46, v2
	;; [unrolled: 1-line block ×3, first 2 shown]
	v_mbcnt_lo_u32_b32 v46, v2, 0
	v_mbcnt_hi_u32_b32 v46, v3, v46
	v_cmp_ne_u64_e32 vcc, 0, v[2:3]
	v_cmp_eq_u32_e64 s[0:1], 0, v46
	s_and_b64 s[2:3], vcc, s[0:1]
	; wave barrier
	s_and_saveexec_b64 s[0:1], s[2:3]
	s_cbranch_execz .LBB25_187
; %bb.186:
	v_bcnt_u32_b32 v2, v2, 0
	v_bcnt_u32_b32 v2, v3, v2
	s_waitcnt lgkmcnt(0)
	v_add_u32_e32 v2, v44, v2
	ds_write_b32 v48, v2 offset:32
.LBB25_187:
	s_or_b64 exec, exec, s[0:1]
	v_xor_b32_e32 v29, 0x80000000, v29
	v_lshrrev_b32_e32 v2, s68, v29
	v_and_b32_e32 v3, s14, v2
	v_mul_lo_u32 v2, v3, 36
	v_and_b32_e32 v49, 1, v3
	; wave barrier
	v_lshl_add_u32 v51, v23, 2, v2
	v_add_co_u32_e32 v2, vcc, -1, v49
	v_addc_co_u32_e64 v50, s[0:1], 0, -1, vcc
	v_cmp_ne_u32_e32 vcc, 0, v49
	v_xor_b32_e32 v2, vcc_lo, v2
	v_xor_b32_e32 v49, vcc_hi, v50
	v_and_b32_e32 v50, exec_lo, v2
	v_lshlrev_b32_e32 v2, 30, v3
	v_cmp_gt_i64_e32 vcc, 0, v[1:2]
	v_not_b32_e32 v2, v2
	v_ashrrev_i32_e32 v2, 31, v2
	v_xor_b32_e32 v52, vcc_hi, v2
	v_xor_b32_e32 v2, vcc_lo, v2
	v_and_b32_e32 v50, v50, v2
	v_lshlrev_b32_e32 v2, 29, v3
	v_cmp_gt_i64_e32 vcc, 0, v[1:2]
	v_not_b32_e32 v2, v2
	v_and_b32_e32 v49, exec_hi, v49
	v_ashrrev_i32_e32 v2, 31, v2
	v_and_b32_e32 v49, v49, v52
	v_xor_b32_e32 v52, vcc_hi, v2
	v_xor_b32_e32 v2, vcc_lo, v2
	v_and_b32_e32 v50, v50, v2
	v_lshlrev_b32_e32 v2, 28, v3
	v_cmp_gt_i64_e32 vcc, 0, v[1:2]
	v_not_b32_e32 v2, v2
	v_ashrrev_i32_e32 v2, 31, v2
	v_and_b32_e32 v49, v49, v52
	v_xor_b32_e32 v52, vcc_hi, v2
	v_xor_b32_e32 v2, vcc_lo, v2
	v_and_b32_e32 v50, v50, v2
	v_lshlrev_b32_e32 v2, 27, v3
	v_cmp_gt_i64_e32 vcc, 0, v[1:2]
	v_not_b32_e32 v1, v2
	v_ashrrev_i32_e32 v1, 31, v1
	v_xor_b32_e32 v2, vcc_hi, v1
	v_xor_b32_e32 v1, vcc_lo, v1
	ds_read_b32 v47, v51 offset:32
	v_and_b32_e32 v49, v49, v52
	v_and_b32_e32 v1, v50, v1
	;; [unrolled: 1-line block ×3, first 2 shown]
	v_mbcnt_lo_u32_b32 v3, v1, 0
	v_mbcnt_hi_u32_b32 v49, v2, v3
	v_cmp_ne_u64_e32 vcc, 0, v[1:2]
	v_cmp_eq_u32_e64 s[0:1], 0, v49
	s_and_b64 s[2:3], vcc, s[0:1]
	; wave barrier
	s_and_saveexec_b64 s[0:1], s[2:3]
	s_cbranch_execz .LBB25_189
; %bb.188:
	v_bcnt_u32_b32 v1, v1, 0
	v_bcnt_u32_b32 v1, v2, v1
	s_waitcnt lgkmcnt(0)
	v_add_u32_e32 v1, v47, v1
	ds_write_b32 v51, v1 offset:32
.LBB25_189:
	s_or_b64 exec, exec, s[0:1]
	v_xor_b32_e32 v50, 0x80000000, v24
	v_lshrrev_b32_e32 v1, s68, v50
	v_and_b32_e32 v3, s14, v1
	v_mul_lo_u32 v1, v3, 36
	v_and_b32_e32 v2, 1, v3
	v_add_co_u32_e32 v52, vcc, -1, v2
	v_addc_co_u32_e64 v53, s[0:1], 0, -1, vcc
	v_cmp_ne_u32_e32 vcc, 0, v2
	v_xor_b32_e32 v2, vcc_hi, v53
	v_lshl_add_u32 v54, v23, 2, v1
	v_mov_b32_e32 v1, 0
	v_and_b32_e32 v53, exec_hi, v2
	v_lshlrev_b32_e32 v2, 30, v3
	v_xor_b32_e32 v52, vcc_lo, v52
	v_cmp_gt_i64_e32 vcc, 0, v[1:2]
	v_not_b32_e32 v2, v2
	v_ashrrev_i32_e32 v2, 31, v2
	v_and_b32_e32 v52, exec_lo, v52
	v_xor_b32_e32 v55, vcc_hi, v2
	v_xor_b32_e32 v2, vcc_lo, v2
	v_and_b32_e32 v52, v52, v2
	v_lshlrev_b32_e32 v2, 29, v3
	v_cmp_gt_i64_e32 vcc, 0, v[1:2]
	v_not_b32_e32 v2, v2
	v_ashrrev_i32_e32 v2, 31, v2
	v_and_b32_e32 v53, v53, v55
	v_xor_b32_e32 v55, vcc_hi, v2
	v_xor_b32_e32 v2, vcc_lo, v2
	v_and_b32_e32 v52, v52, v2
	v_lshlrev_b32_e32 v2, 28, v3
	v_cmp_gt_i64_e32 vcc, 0, v[1:2]
	v_not_b32_e32 v2, v2
	v_ashrrev_i32_e32 v2, 31, v2
	v_and_b32_e32 v53, v53, v55
	v_xor_b32_e32 v55, vcc_hi, v2
	v_xor_b32_e32 v2, vcc_lo, v2
	v_and_b32_e32 v52, v52, v2
	v_lshlrev_b32_e32 v2, 27, v3
	v_cmp_gt_i64_e32 vcc, 0, v[1:2]
	v_not_b32_e32 v2, v2
	v_ashrrev_i32_e32 v2, 31, v2
	v_xor_b32_e32 v3, vcc_hi, v2
	v_xor_b32_e32 v2, vcc_lo, v2
	; wave barrier
	ds_read_b32 v24, v54 offset:32
	v_and_b32_e32 v53, v53, v55
	v_and_b32_e32 v2, v52, v2
	;; [unrolled: 1-line block ×3, first 2 shown]
	v_mbcnt_lo_u32_b32 v52, v2, 0
	v_mbcnt_hi_u32_b32 v52, v3, v52
	v_cmp_ne_u64_e32 vcc, 0, v[2:3]
	v_cmp_eq_u32_e64 s[0:1], 0, v52
	s_and_b64 s[2:3], vcc, s[0:1]
	; wave barrier
	s_and_saveexec_b64 s[0:1], s[2:3]
	s_cbranch_execz .LBB25_191
; %bb.190:
	v_bcnt_u32_b32 v2, v2, 0
	v_bcnt_u32_b32 v2, v3, v2
	s_waitcnt lgkmcnt(0)
	v_add_u32_e32 v2, v24, v2
	ds_write_b32 v54, v2 offset:32
.LBB25_191:
	s_or_b64 exec, exec, s[0:1]
	v_xor_b32_e32 v3, 0x80000000, v18
	v_lshrrev_b32_e32 v2, s68, v3
	v_and_b32_e32 v55, s14, v2
	v_mul_lo_u32 v2, v55, 36
	v_and_b32_e32 v56, 1, v55
	; wave barrier
	v_lshl_add_u32 v18, v23, 2, v2
	v_add_co_u32_e32 v2, vcc, -1, v56
	v_addc_co_u32_e64 v23, s[0:1], 0, -1, vcc
	v_cmp_ne_u32_e32 vcc, 0, v56
	v_xor_b32_e32 v2, vcc_lo, v2
	v_and_b32_e32 v56, exec_lo, v2
	v_lshlrev_b32_e32 v2, 30, v55
	v_xor_b32_e32 v23, vcc_hi, v23
	v_cmp_gt_i64_e32 vcc, 0, v[1:2]
	v_not_b32_e32 v2, v2
	v_ashrrev_i32_e32 v2, 31, v2
	v_xor_b32_e32 v57, vcc_hi, v2
	v_xor_b32_e32 v2, vcc_lo, v2
	v_and_b32_e32 v56, v56, v2
	v_lshlrev_b32_e32 v2, 29, v55
	v_cmp_gt_i64_e32 vcc, 0, v[1:2]
	v_not_b32_e32 v2, v2
	v_and_b32_e32 v23, exec_hi, v23
	v_ashrrev_i32_e32 v2, 31, v2
	v_and_b32_e32 v23, v23, v57
	v_xor_b32_e32 v57, vcc_hi, v2
	v_xor_b32_e32 v2, vcc_lo, v2
	v_and_b32_e32 v56, v56, v2
	v_lshlrev_b32_e32 v2, 28, v55
	v_cmp_gt_i64_e32 vcc, 0, v[1:2]
	v_not_b32_e32 v2, v2
	v_ashrrev_i32_e32 v2, 31, v2
	v_and_b32_e32 v23, v23, v57
	v_xor_b32_e32 v57, vcc_hi, v2
	v_xor_b32_e32 v2, vcc_lo, v2
	v_and_b32_e32 v56, v56, v2
	v_lshlrev_b32_e32 v2, 27, v55
	v_cmp_gt_i64_e32 vcc, 0, v[1:2]
	v_not_b32_e32 v1, v2
	v_ashrrev_i32_e32 v1, 31, v1
	v_xor_b32_e32 v2, vcc_hi, v1
	v_xor_b32_e32 v1, vcc_lo, v1
	ds_read_b32 v53, v18 offset:32
	v_and_b32_e32 v23, v23, v57
	v_and_b32_e32 v1, v56, v1
	;; [unrolled: 1-line block ×3, first 2 shown]
	v_mbcnt_lo_u32_b32 v23, v1, 0
	v_mbcnt_hi_u32_b32 v55, v2, v23
	v_cmp_ne_u64_e32 vcc, 0, v[1:2]
	v_cmp_eq_u32_e64 s[0:1], 0, v55
	s_and_b64 s[2:3], vcc, s[0:1]
	; wave barrier
	s_and_saveexec_b64 s[0:1], s[2:3]
	s_cbranch_execz .LBB25_193
; %bb.192:
	v_bcnt_u32_b32 v1, v1, 0
	v_bcnt_u32_b32 v1, v2, v1
	s_waitcnt lgkmcnt(0)
	v_add_u32_e32 v1, v53, v1
	ds_write_b32 v18, v1 offset:32
.LBB25_193:
	s_or_b64 exec, exec, s[0:1]
	; wave barrier
	s_waitcnt lgkmcnt(0)
	s_barrier
	ds_read_b32 v1, v9 offset:32
	v_and_b32_e32 v2, 15, v5
	v_cmp_ne_u32_e32 vcc, 0, v2
	v_min_u32_e32 v7, 0x1c0, v7
	v_or_b32_e32 v7, 63, v7
	s_waitcnt lgkmcnt(0)
	v_mov_b32_dpp v23, v1 row_shr:1 row_mask:0xf bank_mask:0xf
	v_cndmask_b32_e32 v23, 0, v23, vcc
	v_add_u32_e32 v1, v23, v1
	v_cmp_lt_u32_e32 vcc, 1, v2
	s_nop 0
	v_mov_b32_dpp v23, v1 row_shr:2 row_mask:0xf bank_mask:0xf
	v_cndmask_b32_e32 v23, 0, v23, vcc
	v_add_u32_e32 v1, v1, v23
	v_cmp_lt_u32_e32 vcc, 3, v2
	s_nop 0
	;; [unrolled: 5-line block ×3, first 2 shown]
	v_mov_b32_dpp v23, v1 row_shr:8 row_mask:0xf bank_mask:0xf
	v_cndmask_b32_e32 v2, 0, v23, vcc
	v_add_u32_e32 v1, v1, v2
	v_bfe_i32 v23, v5, 4, 1
	v_cmp_lt_u32_e32 vcc, 31, v5
	v_mov_b32_dpp v2, v1 row_bcast:15 row_mask:0xf bank_mask:0xf
	v_and_b32_e32 v2, v23, v2
	v_add_u32_e32 v1, v1, v2
	s_nop 1
	v_mov_b32_dpp v2, v1 row_bcast:31 row_mask:0xf bank_mask:0xf
	v_cndmask_b32_e32 v2, 0, v2, vcc
	v_add_u32_e32 v1, v1, v2
	v_lshrrev_b32_e32 v2, 6, v0
	v_cmp_eq_u32_e32 vcc, v0, v7
	s_and_saveexec_b64 s[0:1], vcc
; %bb.194:
	v_lshlrev_b32_e32 v7, 2, v2
	ds_write_b32 v7, v1
; %bb.195:
	s_or_b64 exec, exec, s[0:1]
	v_cmp_gt_u32_e32 vcc, 8, v0
	s_waitcnt lgkmcnt(0)
	s_barrier
	s_and_saveexec_b64 s[0:1], vcc
	s_cbranch_execz .LBB25_197
; %bb.196:
	ds_read_b32 v7, v9
	v_and_b32_e32 v23, 7, v5
	v_cmp_ne_u32_e32 vcc, 0, v23
	s_waitcnt lgkmcnt(0)
	v_mov_b32_dpp v56, v7 row_shr:1 row_mask:0xf bank_mask:0xf
	v_cndmask_b32_e32 v56, 0, v56, vcc
	v_add_u32_e32 v7, v56, v7
	v_cmp_lt_u32_e32 vcc, 1, v23
	s_nop 0
	v_mov_b32_dpp v56, v7 row_shr:2 row_mask:0xf bank_mask:0xf
	v_cndmask_b32_e32 v56, 0, v56, vcc
	v_add_u32_e32 v7, v7, v56
	v_cmp_lt_u32_e32 vcc, 3, v23
	s_nop 0
	v_mov_b32_dpp v56, v7 row_shr:4 row_mask:0xf bank_mask:0xf
	v_cndmask_b32_e32 v23, 0, v56, vcc
	v_add_u32_e32 v7, v7, v23
	ds_write_b32 v9, v7
.LBB25_197:
	s_or_b64 exec, exec, s[0:1]
	v_cmp_lt_u32_e32 vcc, 63, v0
	v_mov_b32_e32 v7, 0
	s_waitcnt lgkmcnt(0)
	s_barrier
	s_and_saveexec_b64 s[0:1], vcc
; %bb.198:
	v_lshl_add_u32 v2, v2, 2, -4
	ds_read_b32 v7, v2
; %bb.199:
	s_or_b64 exec, exec, s[0:1]
	v_add_u32_e32 v2, -1, v5
	v_and_b32_e32 v23, 64, v5
	v_cmp_lt_i32_e32 vcc, v2, v23
	v_cndmask_b32_e32 v2, v2, v5, vcc
	s_waitcnt lgkmcnt(0)
	v_add_u32_e32 v1, v7, v1
	v_lshlrev_b32_e32 v2, 2, v2
	ds_bpermute_b32 v1, v2, v1
	v_cmp_eq_u32_e32 vcc, 0, v5
	v_cmp_gt_u32_e64 s[0:1], 32, v0
	s_waitcnt lgkmcnt(0)
	v_cndmask_b32_e32 v1, v1, v7, vcc
	ds_write_b32 v9, v1 offset:32
	s_waitcnt lgkmcnt(0)
	s_barrier
	ds_read_b32 v60, v14 offset:32
	ds_read_b32 v59, v16 offset:32
	;; [unrolled: 1-line block ×12, first 2 shown]
	v_mov_b32_e32 v1, 0
	v_cmp_lt_u32_e32 vcc, 31, v0
	v_mov_b32_e32 v2, 0
                                        ; implicit-def: $vgpr14
	s_and_saveexec_b64 s[4:5], s[0:1]
	s_cbranch_execz .LBB25_203
; %bb.200:
	v_mul_u32_u24_e32 v1, 36, v0
	ds_read_b32 v1, v1 offset:32
	v_add_u32_e32 v14, 1, v0
	v_cmp_ne_u32_e64 s[2:3], 32, v14
	v_mov_b32_e32 v2, 0x1800
	s_and_saveexec_b64 s[10:11], s[2:3]
; %bb.201:
	v_mul_u32_u24_e32 v2, 36, v14
	ds_read_b32 v2, v2 offset:32
; %bb.202:
	s_or_b64 exec, exec, s[10:11]
	s_waitcnt lgkmcnt(0)
	v_sub_u32_e32 v14, v2, v1
	v_mov_b32_e32 v2, 0
.LBB25_203:
	s_or_b64 exec, exec, s[4:5]
	v_lshlrev_b32_e32 v8, 2, v8
	s_waitcnt lgkmcnt(11)
	v_lshl_add_u32 v16, v60, 2, v8
	s_waitcnt lgkmcnt(0)
	s_barrier
	ds_write_b32 v16, v6 offset:256
	v_lshlrev_b32_e32 v6, 2, v59
	v_lshlrev_b32_e32 v4, 2, v4
	;; [unrolled: 1-line block ×3, first 2 shown]
	v_add3_u32 v13, v6, v4, v8
	v_lshlrev_b32_e32 v4, 2, v58
	v_lshlrev_b32_e32 v6, 2, v19
	;; [unrolled: 1-line block ×3, first 2 shown]
	v_add3_u32 v17, v4, v6, v8
	v_lshlrev_b32_e32 v4, 2, v57
	v_lshlrev_b32_e32 v6, 2, v25
	;; [unrolled: 1-line block ×3, first 2 shown]
	ds_write_b32 v13, v12 offset:256
	ds_write_b32 v17, v15 offset:256
	v_add3_u32 v15, v4, v6, v8
	v_lshlrev_b32_e32 v4, 2, v56
	v_lshlrev_b32_e32 v6, 2, v30
	v_lshlrev_b32_e32 v8, 2, v28
	v_add3_u32 v18, v4, v6, v8
	v_lshlrev_b32_e32 v4, 2, v37
	v_lshlrev_b32_e32 v6, 2, v35
	v_lshlrev_b32_e32 v8, 2, v33
	;; [unrolled: 4-line block ×3, first 2 shown]
	ds_write_b32 v15, v20 offset:256
	v_add3_u32 v20, v4, v6, v8
	v_lshlrev_b32_e32 v4, 2, v21
	v_lshlrev_b32_e32 v6, 2, v43
	v_lshlrev_b32_e32 v8, 2, v41
	v_add3_u32 v21, v4, v6, v8
	v_lshlrev_b32_e32 v4, 2, v27
	v_lshlrev_b32_e32 v6, 2, v46
	v_lshlrev_b32_e32 v8, 2, v44
	;; [unrolled: 4-line block ×5, first 2 shown]
	v_add3_u32 v25, v4, v5, v6
	v_lshlrev_b32_e32 v12, 3, v0
	ds_write_b32 v18, v26 offset:256
	ds_write_b32 v19, v31 offset:256
	;; [unrolled: 1-line block ×8, first 2 shown]
	s_waitcnt lgkmcnt(0)
	s_barrier
	s_and_saveexec_b64 s[2:3], s[0:1]
	s_cbranch_execz .LBB25_213
; %bb.204:
	v_lshl_add_u32 v3, s6, 5, v0
	v_mov_b32_e32 v4, 0
	v_lshlrev_b64 v[5:6], 2, v[3:4]
	v_mov_b32_e32 v26, s73
	v_add_co_u32_e64 v5, s[0:1], s72, v5
	v_addc_co_u32_e64 v6, s[0:1], v26, v6, s[0:1]
	v_or_b32_e32 v3, 2.0, v14
	s_mov_b64 s[4:5], 0
	s_brev_b32 s15, -4
	s_mov_b32 s16, s6
	v_mov_b32_e32 v27, 0
	global_store_dword v[5:6], v3, off
                                        ; implicit-def: $sgpr0_sgpr1
	s_branch .LBB25_207
.LBB25_205:                             ;   in Loop: Header=BB25_207 Depth=1
	s_or_b64 exec, exec, s[12:13]
.LBB25_206:                             ;   in Loop: Header=BB25_207 Depth=1
	s_or_b64 exec, exec, s[10:11]
	v_and_b32_e32 v7, 0x3fffffff, v3
	v_add_u32_e32 v27, v7, v27
	v_cmp_gt_i32_e64 s[0:1], -2.0, v3
	s_and_b64 s[10:11], exec, s[0:1]
	s_or_b64 s[4:5], s[10:11], s[4:5]
	s_andn2_b64 exec, exec, s[4:5]
	s_cbranch_execz .LBB25_212
.LBB25_207:                             ; =>This Loop Header: Depth=1
                                        ;     Child Loop BB25_210 Depth 2
	s_or_b64 s[0:1], s[0:1], exec
	s_cmp_eq_u32 s16, 0
	s_cbranch_scc1 .LBB25_211
; %bb.208:                              ;   in Loop: Header=BB25_207 Depth=1
	s_add_i32 s16, s16, -1
	v_lshl_or_b32 v3, s16, 5, v0
	v_lshlrev_b64 v[7:8], 2, v[3:4]
	v_add_co_u32_e64 v7, s[0:1], s72, v7
	v_addc_co_u32_e64 v8, s[0:1], v26, v8, s[0:1]
	global_load_dword v3, v[7:8], off glc
	s_waitcnt vmcnt(0)
	v_cmp_gt_u32_e64 s[0:1], 2.0, v3
	s_and_saveexec_b64 s[10:11], s[0:1]
	s_cbranch_execz .LBB25_206
; %bb.209:                              ;   in Loop: Header=BB25_207 Depth=1
	s_mov_b64 s[12:13], 0
.LBB25_210:                             ;   Parent Loop BB25_207 Depth=1
                                        ; =>  This Inner Loop Header: Depth=2
	global_load_dword v3, v[7:8], off glc
	s_waitcnt vmcnt(0)
	v_cmp_lt_u32_e64 s[0:1], s15, v3
	s_or_b64 s[12:13], s[0:1], s[12:13]
	s_andn2_b64 exec, exec, s[12:13]
	s_cbranch_execnz .LBB25_210
	s_branch .LBB25_205
.LBB25_211:                             ;   in Loop: Header=BB25_207 Depth=1
                                        ; implicit-def: $sgpr16
	s_and_b64 s[10:11], exec, s[0:1]
	s_or_b64 s[4:5], s[10:11], s[4:5]
	s_andn2_b64 exec, exec, s[4:5]
	s_cbranch_execnz .LBB25_207
.LBB25_212:
	s_or_b64 exec, exec, s[4:5]
	v_add_u32_e32 v0, v27, v14
	v_or_b32_e32 v0, 0x80000000, v0
	global_store_dword v[5:6], v0, off
	global_load_dwordx2 v[3:4], v12, s[64:65]
	v_sub_co_u32_e64 v0, s[0:1], v27, v1
	v_subb_co_u32_e64 v5, s[0:1], 0, v2, s[0:1]
	s_waitcnt vmcnt(0)
	v_add_co_u32_e64 v3, s[0:1], v0, v3
	v_addc_co_u32_e64 v4, s[0:1], v5, v4, s[0:1]
	ds_write_b64 v12, v[3:4]
.LBB25_213:
	s_or_b64 exec, exec, s[2:3]
	v_sub_u32_e32 v0, v12, v9
	s_waitcnt lgkmcnt(0)
	s_barrier
	ds_read2st64_b32 v[6:7], v0 offset0:1 offset1:9
	v_mov_b32_e32 v36, s59
	v_mov_b32_e32 v50, s59
	s_waitcnt lgkmcnt(0)
	v_lshrrev_b32_e32 v3, s68, v6
	v_and_b32_e32 v3, s14, v3
	v_lshlrev_b32_e32 v3, 3, v3
	ds_read2st64_b32 v[26:27], v0 offset0:17 offset1:25
	ds_read_b64 v[28:29], v3
	v_lshrrev_b32_e32 v4, s68, v7
	v_and_b32_e32 v4, s14, v4
	v_xor_b32_e32 v8, 0x80000000, v6
	v_lshlrev_b32_e32 v6, 3, v4
	s_waitcnt lgkmcnt(0)
	v_lshlrev_b64 v[28:29], 2, v[28:29]
	v_lshrrev_b32_e32 v4, s68, v26
	v_lshrrev_b32_e32 v5, s68, v27
	v_and_b32_e32 v4, s14, v4
	v_and_b32_e32 v5, s14, v5
	v_add_co_u32_e64 v28, s[0:1], s58, v28
	v_lshlrev_b32_e32 v4, 3, v4
	v_lshlrev_b32_e32 v5, 3, v5
	ds_read_b64 v[30:31], v6
	ds_read_b64 v[32:33], v4
	;; [unrolled: 1-line block ×3, first 2 shown]
	v_addc_co_u32_e64 v29, s[0:1], v36, v29, s[0:1]
	v_add_co_u32_e64 v28, s[0:1], v28, v9
	v_addc_co_u32_e64 v29, s[0:1], 0, v29, s[0:1]
	global_store_dword v[28:29], v8, off
	v_xor_b32_e32 v28, 0x80000000, v7
	s_waitcnt lgkmcnt(2)
	v_lshlrev_b64 v[7:8], 2, v[30:31]
	v_mov_b32_e32 v29, s59
	v_add_co_u32_e64 v7, s[0:1], s58, v7
	v_addc_co_u32_e64 v8, s[0:1], v29, v8, s[0:1]
	v_add_co_u32_e64 v7, s[0:1], v7, v9
	v_addc_co_u32_e64 v8, s[0:1], 0, v8, s[0:1]
	global_store_dword v[7:8], v28, off offset:2048
	s_waitcnt lgkmcnt(1)
	v_lshlrev_b64 v[7:8], 2, v[32:33]
	v_mov_b32_e32 v28, s59
	v_add_co_u32_e64 v29, s[0:1], s58, v7
	v_addc_co_u32_e64 v8, s[0:1], v28, v8, s[0:1]
	v_or_b32_e32 v7, 0x1000, v9
	v_add_co_u32_e64 v28, s[0:1], v29, v7
	v_xor_b32_e32 v26, 0x80000000, v26
	v_addc_co_u32_e64 v29, s[0:1], 0, v8, s[0:1]
	global_store_dword v[28:29], v26, off
	v_xor_b32_e32 v28, 0x80000000, v27
	s_waitcnt lgkmcnt(0)
	v_lshlrev_b64 v[26:27], 2, v[34:35]
	ds_read2st64_b32 v[30:31], v0 offset0:33 offset1:41
	v_mov_b32_e32 v8, s59
	v_add_co_u32_e64 v26, s[0:1], s58, v26
	v_addc_co_u32_e64 v27, s[0:1], v8, v27, s[0:1]
	v_or_b32_e32 v8, 0x1800, v9
	v_add_co_u32_e64 v26, s[0:1], v26, v8
	v_addc_co_u32_e64 v27, s[0:1], 0, v27, s[0:1]
	global_store_dword v[26:27], v28, off
	s_waitcnt lgkmcnt(0)
	v_lshrrev_b32_e32 v26, s68, v30
	v_and_b32_e32 v26, s14, v26
	v_lshlrev_b32_e32 v26, 3, v26
	ds_read2st64_b32 v[32:33], v0 offset0:49 offset1:57
	ds_read_b64 v[34:35], v26
	v_lshrrev_b32_e32 v27, s68, v31
	v_and_b32_e32 v27, s14, v27
	v_lshlrev_b32_e32 v29, 3, v27
	s_waitcnt lgkmcnt(1)
	v_lshrrev_b32_e32 v27, s68, v32
	s_waitcnt lgkmcnt(0)
	v_lshlrev_b64 v[34:35], 2, v[34:35]
	v_lshrrev_b32_e32 v28, s68, v33
	v_xor_b32_e32 v42, 0x80000000, v30
	v_and_b32_e32 v27, s14, v27
	v_and_b32_e32 v28, s14, v28
	v_mov_b32_e32 v30, s59
	v_add_co_u32_e64 v34, s[0:1], s58, v34
	v_lshlrev_b32_e32 v27, 3, v27
	v_lshlrev_b32_e32 v28, 3, v28
	ds_read_b64 v[36:37], v29
	ds_read_b64 v[38:39], v27
	;; [unrolled: 1-line block ×3, first 2 shown]
	v_addc_co_u32_e64 v35, s[0:1], v30, v35, s[0:1]
	v_or_b32_e32 v30, 0x2000, v9
	v_add_co_u32_e64 v34, s[0:1], v34, v30
	v_addc_co_u32_e64 v35, s[0:1], 0, v35, s[0:1]
	global_store_dword v[34:35], v42, off
	s_waitcnt lgkmcnt(2)
	v_lshlrev_b64 v[34:35], 2, v[36:37]
	v_xor_b32_e32 v42, 0x80000000, v31
	v_mov_b32_e32 v31, s59
	v_add_co_u32_e64 v34, s[0:1], s58, v34
	v_addc_co_u32_e64 v35, s[0:1], v31, v35, s[0:1]
	v_or_b32_e32 v31, 0x2800, v9
	v_add_co_u32_e64 v34, s[0:1], v34, v31
	v_addc_co_u32_e64 v35, s[0:1], 0, v35, s[0:1]
	global_store_dword v[34:35], v42, off
	s_waitcnt lgkmcnt(1)
	v_lshlrev_b64 v[34:35], 2, v[38:39]
	v_xor_b32_e32 v36, 0x80000000, v32
	v_mov_b32_e32 v32, s59
	v_add_co_u32_e64 v34, s[0:1], s58, v34
	v_addc_co_u32_e64 v35, s[0:1], v32, v35, s[0:1]
	v_or_b32_e32 v32, 0x3000, v9
	v_add_co_u32_e64 v34, s[0:1], v34, v32
	v_addc_co_u32_e64 v35, s[0:1], 0, v35, s[0:1]
	global_store_dword v[34:35], v36, off
	v_xor_b32_e32 v38, 0x80000000, v33
	s_waitcnt lgkmcnt(0)
	v_lshlrev_b64 v[33:34], 2, v[40:41]
	v_mov_b32_e32 v35, s59
	v_add_co_u32_e64 v36, s[0:1], s58, v33
	v_addc_co_u32_e64 v37, s[0:1], v35, v34, s[0:1]
	ds_read2st64_b32 v[34:35], v0 offset0:65 offset1:73
	v_or_b32_e32 v33, 0x3800, v9
	v_add_co_u32_e64 v36, s[0:1], v36, v33
	v_addc_co_u32_e64 v37, s[0:1], 0, v37, s[0:1]
	global_store_dword v[36:37], v38, off
	s_waitcnt lgkmcnt(0)
	v_lshrrev_b32_e32 v36, s68, v34
	v_and_b32_e32 v36, s14, v36
	v_xor_b32_e32 v46, 0x80000000, v34
	v_lshlrev_b32_e32 v34, 3, v36
	ds_read2st64_b32 v[36:37], v0 offset0:81 offset1:89
	ds_read_b64 v[38:39], v34
	v_lshrrev_b32_e32 v40, s68, v35
	v_and_b32_e32 v40, s14, v40
	v_lshlrev_b32_e32 v47, 3, v40
	s_waitcnt lgkmcnt(1)
	v_lshrrev_b32_e32 v40, s68, v36
	v_and_b32_e32 v40, s14, v40
	s_waitcnt lgkmcnt(0)
	v_lshlrev_b64 v[38:39], 2, v[38:39]
	v_lshlrev_b32_e32 v48, 3, v40
	v_lshrrev_b32_e32 v40, s68, v37
	v_and_b32_e32 v40, s14, v40
	v_add_co_u32_e64 v38, s[0:1], s58, v38
	v_lshlrev_b32_e32 v49, 3, v40
	ds_read_b64 v[40:41], v47
	ds_read_b64 v[42:43], v48
	;; [unrolled: 1-line block ×3, first 2 shown]
	v_addc_co_u32_e64 v39, s[0:1], v50, v39, s[0:1]
	v_or_b32_e32 v50, 0x4000, v9
	v_add_co_u32_e64 v38, s[0:1], v38, v50
	v_addc_co_u32_e64 v39, s[0:1], 0, v39, s[0:1]
	global_store_dword v[38:39], v46, off
	s_waitcnt lgkmcnt(2)
	v_lshlrev_b64 v[38:39], 2, v[40:41]
	v_mov_b32_e32 v40, s59
	v_add_co_u32_e64 v38, s[0:1], s58, v38
	v_addc_co_u32_e64 v39, s[0:1], v40, v39, s[0:1]
	v_or_b32_e32 v40, 0x4800, v9
	v_add_co_u32_e64 v38, s[0:1], v38, v40
	v_xor_b32_e32 v35, 0x80000000, v35
	v_addc_co_u32_e64 v39, s[0:1], 0, v39, s[0:1]
	global_store_dword v[38:39], v35, off
	v_xor_b32_e32 v38, 0x80000000, v36
	s_waitcnt lgkmcnt(1)
	v_lshlrev_b64 v[35:36], 2, v[42:43]
	v_mov_b32_e32 v39, s59
	v_add_co_u32_e64 v35, s[0:1], s58, v35
	v_addc_co_u32_e64 v36, s[0:1], v39, v36, s[0:1]
	v_or_b32_e32 v39, 0x5000, v9
	v_add_co_u32_e64 v35, s[0:1], v35, v39
	v_addc_co_u32_e64 v36, s[0:1], 0, v36, s[0:1]
	global_store_dword v[35:36], v38, off
	s_waitcnt lgkmcnt(0)
	v_lshlrev_b64 v[35:36], 2, v[44:45]
	v_mov_b32_e32 v38, s59
	v_add_co_u32_e64 v35, s[0:1], s58, v35
	v_addc_co_u32_e64 v36, s[0:1], v38, v36, s[0:1]
	v_or_b32_e32 v38, 0x5800, v9
	v_add_co_u32_e64 v35, s[0:1], v35, v38
	v_addc_co_u32_e64 v36, s[0:1], 0, v36, s[0:1]
	s_add_u32 s0, s60, s8
	v_xor_b32_e32 v37, 0x80000000, v37
	s_addc_u32 s1, s61, s9
	global_store_dword v[35:36], v37, off
	v_mov_b32_e32 v35, s1
	v_add_co_u32_e64 v10, s[0:1], s0, v10
	v_addc_co_u32_e64 v35, s[0:1], 0, v35, s[0:1]
	v_add_co_u32_e64 v10, s[0:1], v10, v11
	v_addc_co_u32_e64 v11, s[0:1], 0, v35, s[0:1]
	global_load_dword v35, v[10:11], off
	global_load_dword v36, v[10:11], off offset:256
	global_load_dword v37, v[10:11], off offset:512
	;; [unrolled: 1-line block ×11, first 2 shown]
	s_waitcnt vmcnt(0)
	s_barrier
	ds_write_b32 v16, v35 offset:256
	ds_write_b32 v13, v36 offset:256
	;; [unrolled: 1-line block ×12, first 2 shown]
	s_waitcnt lgkmcnt(0)
	s_barrier
	ds_read_b64 v[10:11], v3
	ds_read2st64_b32 v[15:16], v0 offset0:1 offset1:9
	ds_read_b64 v[17:18], v6
	ds_read_b64 v[3:4], v4
	;; [unrolled: 1-line block ×3, first 2 shown]
	s_waitcnt lgkmcnt(4)
	v_lshlrev_b64 v[10:11], 2, v[10:11]
	v_mov_b32_e32 v13, s63
	v_add_co_u32_e64 v10, s[0:1], s62, v10
	v_addc_co_u32_e64 v11, s[0:1], v13, v11, s[0:1]
	v_add_co_u32_e64 v10, s[0:1], v10, v9
	v_addc_co_u32_e64 v11, s[0:1], 0, v11, s[0:1]
	s_waitcnt lgkmcnt(3)
	global_store_dword v[10:11], v15, off
	s_waitcnt lgkmcnt(2)
	v_lshlrev_b64 v[10:11], 2, v[17:18]
	s_waitcnt lgkmcnt(1)
	v_lshlrev_b64 v[3:4], 2, v[3:4]
	v_add_co_u32_e64 v10, s[0:1], s62, v10
	v_addc_co_u32_e64 v11, s[0:1], v13, v11, s[0:1]
	v_add_co_u32_e64 v9, s[0:1], v10, v9
	v_addc_co_u32_e64 v10, s[0:1], 0, v11, s[0:1]
	global_store_dword v[9:10], v16, off offset:2048
	ds_read2st64_b32 v[9:10], v0 offset0:17 offset1:25
	v_mov_b32_e32 v11, s63
	v_add_co_u32_e64 v3, s[0:1], s62, v3
	v_addc_co_u32_e64 v4, s[0:1], v11, v4, s[0:1]
	v_add_co_u32_e64 v3, s[0:1], v3, v7
	v_addc_co_u32_e64 v4, s[0:1], 0, v4, s[0:1]
	s_waitcnt lgkmcnt(0)
	global_store_dword v[3:4], v9, off
	v_lshlrev_b64 v[3:4], 2, v[5:6]
	v_mov_b32_e32 v5, s63
	v_add_co_u32_e64 v3, s[0:1], s62, v3
	v_addc_co_u32_e64 v4, s[0:1], v5, v4, s[0:1]
	v_add_co_u32_e64 v3, s[0:1], v3, v8
	v_addc_co_u32_e64 v4, s[0:1], 0, v4, s[0:1]
	global_store_dword v[3:4], v10, off
	ds_read_b64 v[3:4], v26
	ds_read2st64_b32 v[5:6], v0 offset0:33 offset1:41
	ds_read_b64 v[7:8], v29
	ds_read_b64 v[9:10], v27
	;; [unrolled: 1-line block ×3, first 2 shown]
	s_waitcnt lgkmcnt(4)
	v_lshlrev_b64 v[3:4], 2, v[3:4]
	s_add_i32 s7, s7, -1
	v_add_co_u32_e64 v3, s[0:1], s62, v3
	v_addc_co_u32_e64 v4, s[0:1], v11, v4, s[0:1]
	v_add_co_u32_e64 v3, s[0:1], v3, v30
	v_addc_co_u32_e64 v4, s[0:1], 0, v4, s[0:1]
	s_waitcnt lgkmcnt(3)
	global_store_dword v[3:4], v5, off
	s_waitcnt lgkmcnt(2)
	v_lshlrev_b64 v[3:4], 2, v[7:8]
	v_mov_b32_e32 v5, s63
	v_add_co_u32_e64 v3, s[0:1], s62, v3
	v_addc_co_u32_e64 v4, s[0:1], v5, v4, s[0:1]
	v_add_co_u32_e64 v3, s[0:1], v3, v31
	v_addc_co_u32_e64 v4, s[0:1], 0, v4, s[0:1]
	global_store_dword v[3:4], v6, off
	s_waitcnt lgkmcnt(1)
	v_lshlrev_b64 v[5:6], 2, v[9:10]
	ds_read2st64_b32 v[3:4], v0 offset0:49 offset1:57
	v_mov_b32_e32 v7, s63
	v_add_co_u32_e64 v5, s[0:1], s62, v5
	v_addc_co_u32_e64 v6, s[0:1], v7, v6, s[0:1]
	v_add_co_u32_e64 v5, s[0:1], v5, v32
	v_addc_co_u32_e64 v6, s[0:1], 0, v6, s[0:1]
	s_waitcnt lgkmcnt(0)
	global_store_dword v[5:6], v3, off
	v_lshlrev_b64 v[5:6], 2, v[15:16]
	v_mov_b32_e32 v3, s63
	v_add_co_u32_e64 v5, s[0:1], s62, v5
	v_addc_co_u32_e64 v3, s[0:1], v3, v6, s[0:1]
	v_add_co_u32_e64 v5, s[0:1], v5, v33
	v_addc_co_u32_e64 v6, s[0:1], 0, v3, s[0:1]
	global_store_dword v[5:6], v4, off
	ds_read_b64 v[3:4], v34
	ds_read2st64_b32 v[5:6], v0 offset0:65 offset1:73
	ds_read_b64 v[7:8], v47
	ds_read_b64 v[9:10], v48
	;; [unrolled: 1-line block ×3, first 2 shown]
	s_waitcnt lgkmcnt(4)
	v_lshlrev_b64 v[3:4], 2, v[3:4]
	s_cmp_eq_u32 s6, s7
	v_add_co_u32_e64 v3, s[0:1], s62, v3
	v_addc_co_u32_e64 v4, s[0:1], v11, v4, s[0:1]
	v_add_co_u32_e64 v3, s[0:1], v3, v50
	v_addc_co_u32_e64 v4, s[0:1], 0, v4, s[0:1]
	s_waitcnt lgkmcnt(3)
	global_store_dword v[3:4], v5, off
	s_waitcnt lgkmcnt(2)
	v_lshlrev_b64 v[3:4], 2, v[7:8]
	v_mov_b32_e32 v5, s63
	v_add_co_u32_e64 v3, s[0:1], s62, v3
	v_addc_co_u32_e64 v4, s[0:1], v5, v4, s[0:1]
	v_add_co_u32_e64 v3, s[0:1], v3, v40
	v_addc_co_u32_e64 v4, s[0:1], 0, v4, s[0:1]
	global_store_dword v[3:4], v6, off
	s_waitcnt lgkmcnt(1)
	v_lshlrev_b64 v[5:6], 2, v[9:10]
	ds_read2st64_b32 v[3:4], v0 offset0:81 offset1:89
	v_mov_b32_e32 v0, s63
	v_add_co_u32_e64 v5, s[0:1], s62, v5
	v_addc_co_u32_e64 v0, s[0:1], v0, v6, s[0:1]
	v_add_co_u32_e64 v5, s[0:1], v5, v39
	v_addc_co_u32_e64 v6, s[0:1], 0, v0, s[0:1]
	s_waitcnt lgkmcnt(0)
	global_store_dword v[5:6], v3, off
	v_lshlrev_b64 v[5:6], 2, v[15:16]
	v_mov_b32_e32 v0, s63
	v_add_co_u32_e64 v3, s[0:1], s62, v5
	v_addc_co_u32_e64 v0, s[0:1], v0, v6, s[0:1]
	v_add_co_u32_e64 v5, s[0:1], v3, v38
	v_addc_co_u32_e64 v6, s[0:1], 0, v0, s[0:1]
	s_cselect_b64 s[0:1], -1, 0
	s_xor_b64 s[2:3], vcc, -1
	s_and_b64 s[0:1], s[2:3], s[0:1]
	global_store_dword v[5:6], v4, off
	s_and_saveexec_b64 s[2:3], s[0:1]
	s_cbranch_execz .LBB25_215
; %bb.214:
	ds_read_b64 v[3:4], v12
	v_add_co_u32_e32 v0, vcc, v1, v14
	v_addc_co_u32_e32 v1, vcc, 0, v2, vcc
	s_waitcnt lgkmcnt(0)
	v_add_co_u32_e32 v0, vcc, v0, v3
	v_addc_co_u32_e32 v1, vcc, v1, v4, vcc
	global_store_dwordx2 v12, v[0:1], s[66:67]
.LBB25_215:
	s_endpgm
	.section	.rodata,"a",@progbits
	.p2align	6, 0x0
	.amdhsa_kernel _ZN7rocprim17ROCPRIM_304000_NS6detail25onesweep_iteration_kernelINS1_34wrapped_radix_sort_onesweep_configINS0_14default_configEiN2at4cuda3cub6detail10OpaqueTypeILi4EEEEELb0EPiSC_PSA_SD_mNS0_19identity_decomposerEEEvT1_T2_T3_T4_jPT5_SK_PNS1_23onesweep_lookback_stateET6_jjj
		.amdhsa_group_segment_fixed_size 24832
		.amdhsa_private_segment_fixed_size 0
		.amdhsa_kernarg_size 336
		.amdhsa_user_sgpr_count 6
		.amdhsa_user_sgpr_private_segment_buffer 1
		.amdhsa_user_sgpr_dispatch_ptr 0
		.amdhsa_user_sgpr_queue_ptr 0
		.amdhsa_user_sgpr_kernarg_segment_ptr 1
		.amdhsa_user_sgpr_dispatch_id 0
		.amdhsa_user_sgpr_flat_scratch_init 0
		.amdhsa_user_sgpr_private_segment_size 0
		.amdhsa_uses_dynamic_stack 0
		.amdhsa_system_sgpr_private_segment_wavefront_offset 0
		.amdhsa_system_sgpr_workgroup_id_x 1
		.amdhsa_system_sgpr_workgroup_id_y 0
		.amdhsa_system_sgpr_workgroup_id_z 0
		.amdhsa_system_sgpr_workgroup_info 0
		.amdhsa_system_vgpr_workitem_id 2
		.amdhsa_next_free_vgpr 63
		.amdhsa_next_free_sgpr 98
		.amdhsa_reserve_vcc 1
		.amdhsa_reserve_flat_scratch 0
		.amdhsa_float_round_mode_32 0
		.amdhsa_float_round_mode_16_64 0
		.amdhsa_float_denorm_mode_32 3
		.amdhsa_float_denorm_mode_16_64 3
		.amdhsa_dx10_clamp 1
		.amdhsa_ieee_mode 1
		.amdhsa_fp16_overflow 0
		.amdhsa_exception_fp_ieee_invalid_op 0
		.amdhsa_exception_fp_denorm_src 0
		.amdhsa_exception_fp_ieee_div_zero 0
		.amdhsa_exception_fp_ieee_overflow 0
		.amdhsa_exception_fp_ieee_underflow 0
		.amdhsa_exception_fp_ieee_inexact 0
		.amdhsa_exception_int_div_zero 0
	.end_amdhsa_kernel
	.section	.text._ZN7rocprim17ROCPRIM_304000_NS6detail25onesweep_iteration_kernelINS1_34wrapped_radix_sort_onesweep_configINS0_14default_configEiN2at4cuda3cub6detail10OpaqueTypeILi4EEEEELb0EPiSC_PSA_SD_mNS0_19identity_decomposerEEEvT1_T2_T3_T4_jPT5_SK_PNS1_23onesweep_lookback_stateET6_jjj,"axG",@progbits,_ZN7rocprim17ROCPRIM_304000_NS6detail25onesweep_iteration_kernelINS1_34wrapped_radix_sort_onesweep_configINS0_14default_configEiN2at4cuda3cub6detail10OpaqueTypeILi4EEEEELb0EPiSC_PSA_SD_mNS0_19identity_decomposerEEEvT1_T2_T3_T4_jPT5_SK_PNS1_23onesweep_lookback_stateET6_jjj,comdat
.Lfunc_end25:
	.size	_ZN7rocprim17ROCPRIM_304000_NS6detail25onesweep_iteration_kernelINS1_34wrapped_radix_sort_onesweep_configINS0_14default_configEiN2at4cuda3cub6detail10OpaqueTypeILi4EEEEELb0EPiSC_PSA_SD_mNS0_19identity_decomposerEEEvT1_T2_T3_T4_jPT5_SK_PNS1_23onesweep_lookback_stateET6_jjj, .Lfunc_end25-_ZN7rocprim17ROCPRIM_304000_NS6detail25onesweep_iteration_kernelINS1_34wrapped_radix_sort_onesweep_configINS0_14default_configEiN2at4cuda3cub6detail10OpaqueTypeILi4EEEEELb0EPiSC_PSA_SD_mNS0_19identity_decomposerEEEvT1_T2_T3_T4_jPT5_SK_PNS1_23onesweep_lookback_stateET6_jjj
                                        ; -- End function
	.set _ZN7rocprim17ROCPRIM_304000_NS6detail25onesweep_iteration_kernelINS1_34wrapped_radix_sort_onesweep_configINS0_14default_configEiN2at4cuda3cub6detail10OpaqueTypeILi4EEEEELb0EPiSC_PSA_SD_mNS0_19identity_decomposerEEEvT1_T2_T3_T4_jPT5_SK_PNS1_23onesweep_lookback_stateET6_jjj.num_vgpr, 63
	.set _ZN7rocprim17ROCPRIM_304000_NS6detail25onesweep_iteration_kernelINS1_34wrapped_radix_sort_onesweep_configINS0_14default_configEiN2at4cuda3cub6detail10OpaqueTypeILi4EEEEELb0EPiSC_PSA_SD_mNS0_19identity_decomposerEEEvT1_T2_T3_T4_jPT5_SK_PNS1_23onesweep_lookback_stateET6_jjj.num_agpr, 0
	.set _ZN7rocprim17ROCPRIM_304000_NS6detail25onesweep_iteration_kernelINS1_34wrapped_radix_sort_onesweep_configINS0_14default_configEiN2at4cuda3cub6detail10OpaqueTypeILi4EEEEELb0EPiSC_PSA_SD_mNS0_19identity_decomposerEEEvT1_T2_T3_T4_jPT5_SK_PNS1_23onesweep_lookback_stateET6_jjj.numbered_sgpr, 78
	.set _ZN7rocprim17ROCPRIM_304000_NS6detail25onesweep_iteration_kernelINS1_34wrapped_radix_sort_onesweep_configINS0_14default_configEiN2at4cuda3cub6detail10OpaqueTypeILi4EEEEELb0EPiSC_PSA_SD_mNS0_19identity_decomposerEEEvT1_T2_T3_T4_jPT5_SK_PNS1_23onesweep_lookback_stateET6_jjj.num_named_barrier, 0
	.set _ZN7rocprim17ROCPRIM_304000_NS6detail25onesweep_iteration_kernelINS1_34wrapped_radix_sort_onesweep_configINS0_14default_configEiN2at4cuda3cub6detail10OpaqueTypeILi4EEEEELb0EPiSC_PSA_SD_mNS0_19identity_decomposerEEEvT1_T2_T3_T4_jPT5_SK_PNS1_23onesweep_lookback_stateET6_jjj.private_seg_size, 0
	.set _ZN7rocprim17ROCPRIM_304000_NS6detail25onesweep_iteration_kernelINS1_34wrapped_radix_sort_onesweep_configINS0_14default_configEiN2at4cuda3cub6detail10OpaqueTypeILi4EEEEELb0EPiSC_PSA_SD_mNS0_19identity_decomposerEEEvT1_T2_T3_T4_jPT5_SK_PNS1_23onesweep_lookback_stateET6_jjj.uses_vcc, 1
	.set _ZN7rocprim17ROCPRIM_304000_NS6detail25onesweep_iteration_kernelINS1_34wrapped_radix_sort_onesweep_configINS0_14default_configEiN2at4cuda3cub6detail10OpaqueTypeILi4EEEEELb0EPiSC_PSA_SD_mNS0_19identity_decomposerEEEvT1_T2_T3_T4_jPT5_SK_PNS1_23onesweep_lookback_stateET6_jjj.uses_flat_scratch, 0
	.set _ZN7rocprim17ROCPRIM_304000_NS6detail25onesweep_iteration_kernelINS1_34wrapped_radix_sort_onesweep_configINS0_14default_configEiN2at4cuda3cub6detail10OpaqueTypeILi4EEEEELb0EPiSC_PSA_SD_mNS0_19identity_decomposerEEEvT1_T2_T3_T4_jPT5_SK_PNS1_23onesweep_lookback_stateET6_jjj.has_dyn_sized_stack, 0
	.set _ZN7rocprim17ROCPRIM_304000_NS6detail25onesweep_iteration_kernelINS1_34wrapped_radix_sort_onesweep_configINS0_14default_configEiN2at4cuda3cub6detail10OpaqueTypeILi4EEEEELb0EPiSC_PSA_SD_mNS0_19identity_decomposerEEEvT1_T2_T3_T4_jPT5_SK_PNS1_23onesweep_lookback_stateET6_jjj.has_recursion, 0
	.set _ZN7rocprim17ROCPRIM_304000_NS6detail25onesweep_iteration_kernelINS1_34wrapped_radix_sort_onesweep_configINS0_14default_configEiN2at4cuda3cub6detail10OpaqueTypeILi4EEEEELb0EPiSC_PSA_SD_mNS0_19identity_decomposerEEEvT1_T2_T3_T4_jPT5_SK_PNS1_23onesweep_lookback_stateET6_jjj.has_indirect_call, 0
	.section	.AMDGPU.csdata,"",@progbits
; Kernel info:
; codeLenInByte = 16784
; TotalNumSgprs: 82
; NumVgprs: 63
; ScratchSize: 0
; MemoryBound: 0
; FloatMode: 240
; IeeeMode: 1
; LDSByteSize: 24832 bytes/workgroup (compile time only)
; SGPRBlocks: 12
; VGPRBlocks: 15
; NumSGPRsForWavesPerEU: 102
; NumVGPRsForWavesPerEU: 63
; Occupancy: 4
; WaveLimiterHint : 1
; COMPUTE_PGM_RSRC2:SCRATCH_EN: 0
; COMPUTE_PGM_RSRC2:USER_SGPR: 6
; COMPUTE_PGM_RSRC2:TRAP_HANDLER: 0
; COMPUTE_PGM_RSRC2:TGID_X_EN: 1
; COMPUTE_PGM_RSRC2:TGID_Y_EN: 0
; COMPUTE_PGM_RSRC2:TGID_Z_EN: 0
; COMPUTE_PGM_RSRC2:TIDIG_COMP_CNT: 2
	.section	.AMDGPU.gpr_maximums,"",@progbits
	.set amdgpu.max_num_vgpr, 0
	.set amdgpu.max_num_agpr, 0
	.set amdgpu.max_num_sgpr, 0
	.section	.AMDGPU.csdata,"",@progbits
	.type	__hip_cuid_c25edff35d1fb36d,@object ; @__hip_cuid_c25edff35d1fb36d
	.section	.bss,"aw",@nobits
	.globl	__hip_cuid_c25edff35d1fb36d
__hip_cuid_c25edff35d1fb36d:
	.byte	0                               ; 0x0
	.size	__hip_cuid_c25edff35d1fb36d, 1

	.ident	"AMD clang version 22.0.0git (https://github.com/RadeonOpenCompute/llvm-project roc-7.2.4 26084 f58b06dce1f9c15707c5f808fd002e18c2accf7e)"
	.section	".note.GNU-stack","",@progbits
	.addrsig
	.addrsig_sym __hip_cuid_c25edff35d1fb36d
	.amdgpu_metadata
---
amdhsa.kernels:
  - .args:
      - .address_space:  global
        .offset:         0
        .size:           8
        .value_kind:     global_buffer
      - .address_space:  global
        .offset:         8
        .size:           8
        .value_kind:     global_buffer
      - .address_space:  global
        .offset:         16
        .size:           8
        .value_kind:     global_buffer
      - .address_space:  global
        .offset:         24
        .size:           8
        .value_kind:     global_buffer
      - .offset:         32
        .size:           4
        .value_kind:     by_value
      - .offset:         36
        .size:           1
        .value_kind:     by_value
      - .offset:         40
        .size:           4
        .value_kind:     by_value
      - .offset:         44
        .size:           4
        .value_kind:     by_value
      - .offset:         48
        .size:           4
        .value_kind:     hidden_block_count_x
      - .offset:         52
        .size:           4
        .value_kind:     hidden_block_count_y
      - .offset:         56
        .size:           4
        .value_kind:     hidden_block_count_z
      - .offset:         60
        .size:           2
        .value_kind:     hidden_group_size_x
      - .offset:         62
        .size:           2
        .value_kind:     hidden_group_size_y
      - .offset:         64
        .size:           2
        .value_kind:     hidden_group_size_z
      - .offset:         66
        .size:           2
        .value_kind:     hidden_remainder_x
      - .offset:         68
        .size:           2
        .value_kind:     hidden_remainder_y
      - .offset:         70
        .size:           2
        .value_kind:     hidden_remainder_z
      - .offset:         88
        .size:           8
        .value_kind:     hidden_global_offset_x
      - .offset:         96
        .size:           8
        .value_kind:     hidden_global_offset_y
      - .offset:         104
        .size:           8
        .value_kind:     hidden_global_offset_z
      - .offset:         112
        .size:           2
        .value_kind:     hidden_grid_dims
    .group_segment_fixed_size: 4112
    .kernarg_segment_align: 8
    .kernarg_segment_size: 304
    .language:       OpenCL C
    .language_version:
      - 2
      - 0
    .max_flat_workgroup_size: 256
    .name:           _ZN7rocprim17ROCPRIM_304000_NS6detail28radix_sort_block_sort_kernelINS1_36wrapped_radix_sort_block_sort_configINS0_13kernel_configILj256ELj4ELj4294967295EEEiN2at4cuda3cub6detail10OpaqueTypeILi4EEEEELb1EPKiPiPKSB_PSB_NS0_19identity_decomposerEEEvT1_T2_T3_T4_jT5_jj
    .private_segment_fixed_size: 0
    .sgpr_count:     48
    .sgpr_spill_count: 0
    .symbol:         _ZN7rocprim17ROCPRIM_304000_NS6detail28radix_sort_block_sort_kernelINS1_36wrapped_radix_sort_block_sort_configINS0_13kernel_configILj256ELj4ELj4294967295EEEiN2at4cuda3cub6detail10OpaqueTypeILi4EEEEELb1EPKiPiPKSB_PSB_NS0_19identity_decomposerEEEvT1_T2_T3_T4_jT5_jj.kd
    .uniform_work_group_size: 1
    .uses_dynamic_stack: false
    .vgpr_count:     39
    .vgpr_spill_count: 0
    .wavefront_size: 64
  - .args:           []
    .group_segment_fixed_size: 0
    .kernarg_segment_align: 4
    .kernarg_segment_size: 0
    .language:       OpenCL C
    .language_version:
      - 2
      - 0
    .max_flat_workgroup_size: 1024
    .name:           _ZN7rocprim17ROCPRIM_304000_NS6detail39device_merge_sort_compile_time_verifierINS1_36wrapped_merge_sort_block_sort_configINS1_28merge_sort_block_sort_configILj256ELj4ELNS0_20block_sort_algorithmE0EEEiN2at4cuda3cub6detail10OpaqueTypeILi4EEEEENS1_37wrapped_merge_sort_block_merge_configINS0_14default_configEiSC_EEEEvv
    .private_segment_fixed_size: 0
    .sgpr_count:     4
    .sgpr_spill_count: 0
    .symbol:         _ZN7rocprim17ROCPRIM_304000_NS6detail39device_merge_sort_compile_time_verifierINS1_36wrapped_merge_sort_block_sort_configINS1_28merge_sort_block_sort_configILj256ELj4ELNS0_20block_sort_algorithmE0EEEiN2at4cuda3cub6detail10OpaqueTypeILi4EEEEENS1_37wrapped_merge_sort_block_merge_configINS0_14default_configEiSC_EEEEvv.kd
    .uniform_work_group_size: 1
    .uses_dynamic_stack: false
    .vgpr_count:     0
    .vgpr_spill_count: 0
    .wavefront_size: 64
  - .args:
      - .address_space:  global
        .offset:         0
        .size:           8
        .value_kind:     global_buffer
      - .offset:         8
        .size:           4
        .value_kind:     by_value
      - .offset:         12
        .size:           4
        .value_kind:     by_value
      - .address_space:  global
        .offset:         16
        .size:           8
        .value_kind:     global_buffer
      - .offset:         24
        .size:           1
        .value_kind:     by_value
      - .offset:         28
        .size:           4
        .value_kind:     by_value
    .group_segment_fixed_size: 0
    .kernarg_segment_align: 8
    .kernarg_segment_size: 32
    .language:       OpenCL C
    .language_version:
      - 2
      - 0
    .max_flat_workgroup_size: 128
    .name:           _ZN7rocprim17ROCPRIM_304000_NS6detail45device_block_merge_mergepath_partition_kernelINS1_37wrapped_merge_sort_block_merge_configINS0_14default_configEiN2at4cuda3cub6detail10OpaqueTypeILi4EEEEEPijNS1_19radix_merge_compareILb1ELb0EiNS0_19identity_decomposerEEEEEvT0_T1_jPSH_T2_SH_
    .private_segment_fixed_size: 0
    .sgpr_count:     11
    .sgpr_spill_count: 0
    .symbol:         _ZN7rocprim17ROCPRIM_304000_NS6detail45device_block_merge_mergepath_partition_kernelINS1_37wrapped_merge_sort_block_merge_configINS0_14default_configEiN2at4cuda3cub6detail10OpaqueTypeILi4EEEEEPijNS1_19radix_merge_compareILb1ELb0EiNS0_19identity_decomposerEEEEEvT0_T1_jPSH_T2_SH_.kd
    .uniform_work_group_size: 1
    .uses_dynamic_stack: false
    .vgpr_count:     17
    .vgpr_spill_count: 0
    .wavefront_size: 64
  - .args:
      - .address_space:  global
        .offset:         0
        .size:           8
        .value_kind:     global_buffer
      - .address_space:  global
        .offset:         8
        .size:           8
        .value_kind:     global_buffer
      - .address_space:  global
        .offset:         16
        .size:           8
        .value_kind:     global_buffer
      - .address_space:  global
        .offset:         24
        .size:           8
        .value_kind:     global_buffer
      - .offset:         32
        .size:           4
        .value_kind:     by_value
      - .offset:         36
        .size:           4
        .value_kind:     by_value
      - .offset:         40
        .size:           4
        .value_kind:     by_value
      - .offset:         44
        .size:           1
        .value_kind:     by_value
      - .address_space:  global
        .offset:         48
        .size:           8
        .value_kind:     global_buffer
      - .address_space:  global
        .offset:         56
        .size:           8
        .value_kind:     global_buffer
      - .offset:         64
        .size:           4
        .value_kind:     hidden_block_count_x
      - .offset:         68
        .size:           4
        .value_kind:     hidden_block_count_y
      - .offset:         72
        .size:           4
        .value_kind:     hidden_block_count_z
      - .offset:         76
        .size:           2
        .value_kind:     hidden_group_size_x
      - .offset:         78
        .size:           2
        .value_kind:     hidden_group_size_y
      - .offset:         80
        .size:           2
        .value_kind:     hidden_group_size_z
      - .offset:         82
        .size:           2
        .value_kind:     hidden_remainder_x
      - .offset:         84
        .size:           2
        .value_kind:     hidden_remainder_y
      - .offset:         86
        .size:           2
        .value_kind:     hidden_remainder_z
      - .offset:         104
        .size:           8
        .value_kind:     hidden_global_offset_x
      - .offset:         112
        .size:           8
        .value_kind:     hidden_global_offset_y
      - .offset:         120
        .size:           8
        .value_kind:     hidden_global_offset_z
      - .offset:         128
        .size:           2
        .value_kind:     hidden_grid_dims
    .group_segment_fixed_size: 4224
    .kernarg_segment_align: 8
    .kernarg_segment_size: 320
    .language:       OpenCL C
    .language_version:
      - 2
      - 0
    .max_flat_workgroup_size: 128
    .name:           _ZN7rocprim17ROCPRIM_304000_NS6detail35device_block_merge_mergepath_kernelINS1_37wrapped_merge_sort_block_merge_configINS0_14default_configEiN2at4cuda3cub6detail10OpaqueTypeILi4EEEEEPiSC_PSA_SD_jNS1_19radix_merge_compareILb1ELb0EiNS0_19identity_decomposerEEEEEvT0_T1_T2_T3_T4_SL_jT5_PKSL_NS1_7vsmem_tE
    .private_segment_fixed_size: 0
    .sgpr_count:     42
    .sgpr_spill_count: 0
    .symbol:         _ZN7rocprim17ROCPRIM_304000_NS6detail35device_block_merge_mergepath_kernelINS1_37wrapped_merge_sort_block_merge_configINS0_14default_configEiN2at4cuda3cub6detail10OpaqueTypeILi4EEEEEPiSC_PSA_SD_jNS1_19radix_merge_compareILb1ELb0EiNS0_19identity_decomposerEEEEEvT0_T1_T2_T3_T4_SL_jT5_PKSL_NS1_7vsmem_tE.kd
    .uniform_work_group_size: 1
    .uses_dynamic_stack: false
    .vgpr_count:     32
    .vgpr_spill_count: 0
    .wavefront_size: 64
  - .args:
      - .address_space:  global
        .offset:         0
        .size:           8
        .value_kind:     global_buffer
      - .address_space:  global
        .offset:         8
        .size:           8
        .value_kind:     global_buffer
      - .address_space:  global
        .offset:         16
        .size:           8
        .value_kind:     global_buffer
      - .address_space:  global
        .offset:         24
        .size:           8
        .value_kind:     global_buffer
      - .offset:         32
        .size:           4
        .value_kind:     by_value
      - .offset:         36
        .size:           4
        .value_kind:     by_value
      - .offset:         40
        .size:           1
        .value_kind:     by_value
    .group_segment_fixed_size: 0
    .kernarg_segment_align: 8
    .kernarg_segment_size: 44
    .language:       OpenCL C
    .language_version:
      - 2
      - 0
    .max_flat_workgroup_size: 256
    .name:           _ZN7rocprim17ROCPRIM_304000_NS6detail33device_block_merge_oddeven_kernelINS1_37wrapped_merge_sort_block_merge_configINS0_14default_configEiN2at4cuda3cub6detail10OpaqueTypeILi4EEEEEPiSC_PSA_SD_jNS1_19radix_merge_compareILb1ELb0EiNS0_19identity_decomposerEEEEEvT0_T1_T2_T3_T4_SL_T5_
    .private_segment_fixed_size: 0
    .sgpr_count:     26
    .sgpr_spill_count: 0
    .symbol:         _ZN7rocprim17ROCPRIM_304000_NS6detail33device_block_merge_oddeven_kernelINS1_37wrapped_merge_sort_block_merge_configINS0_14default_configEiN2at4cuda3cub6detail10OpaqueTypeILi4EEEEEPiSC_PSA_SD_jNS1_19radix_merge_compareILb1ELb0EiNS0_19identity_decomposerEEEEEvT0_T1_T2_T3_T4_SL_T5_.kd
    .uniform_work_group_size: 1
    .uses_dynamic_stack: false
    .vgpr_count:     11
    .vgpr_spill_count: 0
    .wavefront_size: 64
  - .args:
      - .address_space:  global
        .offset:         0
        .size:           8
        .value_kind:     global_buffer
      - .offset:         8
        .size:           8
        .value_kind:     by_value
      - .address_space:  global
        .offset:         16
        .size:           8
        .value_kind:     global_buffer
      - .offset:         24
        .size:           1
        .value_kind:     by_value
      - .offset:         32
        .size:           4
        .value_kind:     hidden_block_count_x
      - .offset:         36
        .size:           4
        .value_kind:     hidden_block_count_y
      - .offset:         40
        .size:           4
        .value_kind:     hidden_block_count_z
      - .offset:         44
        .size:           2
        .value_kind:     hidden_group_size_x
      - .offset:         46
        .size:           2
        .value_kind:     hidden_group_size_y
      - .offset:         48
        .size:           2
        .value_kind:     hidden_group_size_z
      - .offset:         50
        .size:           2
        .value_kind:     hidden_remainder_x
      - .offset:         52
        .size:           2
        .value_kind:     hidden_remainder_y
      - .offset:         54
        .size:           2
        .value_kind:     hidden_remainder_z
      - .offset:         72
        .size:           8
        .value_kind:     hidden_global_offset_x
      - .offset:         80
        .size:           8
        .value_kind:     hidden_global_offset_y
      - .offset:         88
        .size:           8
        .value_kind:     hidden_global_offset_z
      - .offset:         96
        .size:           2
        .value_kind:     hidden_grid_dims
    .group_segment_fixed_size: 0
    .kernarg_segment_align: 8
    .kernarg_segment_size: 288
    .language:       OpenCL C
    .language_version:
      - 2
      - 0
    .max_flat_workgroup_size: 1024
    .name:           _ZN7rocprim17ROCPRIM_304000_NS6detail16transform_kernelINS1_24wrapped_transform_configINS0_14default_configEiEEiPiS6_NS0_8identityIiEEEEvT1_mT2_T3_
    .private_segment_fixed_size: 0
    .sgpr_count:     16
    .sgpr_spill_count: 0
    .symbol:         _ZN7rocprim17ROCPRIM_304000_NS6detail16transform_kernelINS1_24wrapped_transform_configINS0_14default_configEiEEiPiS6_NS0_8identityIiEEEEvT1_mT2_T3_.kd
    .uniform_work_group_size: 1
    .uses_dynamic_stack: false
    .vgpr_count:     8
    .vgpr_spill_count: 0
    .wavefront_size: 64
  - .args:
      - .address_space:  global
        .offset:         0
        .size:           8
        .value_kind:     global_buffer
      - .offset:         8
        .size:           8
        .value_kind:     by_value
      - .address_space:  global
        .offset:         16
        .size:           8
        .value_kind:     global_buffer
      - .offset:         24
        .size:           1
        .value_kind:     by_value
      - .offset:         32
        .size:           4
        .value_kind:     hidden_block_count_x
      - .offset:         36
        .size:           4
        .value_kind:     hidden_block_count_y
      - .offset:         40
        .size:           4
        .value_kind:     hidden_block_count_z
      - .offset:         44
        .size:           2
        .value_kind:     hidden_group_size_x
      - .offset:         46
        .size:           2
        .value_kind:     hidden_group_size_y
      - .offset:         48
        .size:           2
        .value_kind:     hidden_group_size_z
      - .offset:         50
        .size:           2
        .value_kind:     hidden_remainder_x
      - .offset:         52
        .size:           2
        .value_kind:     hidden_remainder_y
      - .offset:         54
        .size:           2
        .value_kind:     hidden_remainder_z
      - .offset:         72
        .size:           8
        .value_kind:     hidden_global_offset_x
      - .offset:         80
        .size:           8
        .value_kind:     hidden_global_offset_y
      - .offset:         88
        .size:           8
        .value_kind:     hidden_global_offset_z
      - .offset:         96
        .size:           2
        .value_kind:     hidden_grid_dims
    .group_segment_fixed_size: 0
    .kernarg_segment_align: 8
    .kernarg_segment_size: 288
    .language:       OpenCL C
    .language_version:
      - 2
      - 0
    .max_flat_workgroup_size: 1024
    .name:           _ZN7rocprim17ROCPRIM_304000_NS6detail16transform_kernelINS1_24wrapped_transform_configINS0_14default_configEN2at4cuda3cub6detail10OpaqueTypeILi4EEEEESA_PSA_SC_NS0_8identityISA_EEEEvT1_mT2_T3_
    .private_segment_fixed_size: 0
    .sgpr_count:     16
    .sgpr_spill_count: 0
    .symbol:         _ZN7rocprim17ROCPRIM_304000_NS6detail16transform_kernelINS1_24wrapped_transform_configINS0_14default_configEN2at4cuda3cub6detail10OpaqueTypeILi4EEEEESA_PSA_SC_NS0_8identityISA_EEEEvT1_mT2_T3_.kd
    .uniform_work_group_size: 1
    .uses_dynamic_stack: false
    .vgpr_count:     7
    .vgpr_spill_count: 0
    .wavefront_size: 64
  - .args:
      - .address_space:  global
        .offset:         0
        .size:           8
        .value_kind:     global_buffer
      - .offset:         8
        .size:           4
        .value_kind:     by_value
      - .offset:         12
        .size:           4
        .value_kind:     by_value
      - .address_space:  global
        .offset:         16
        .size:           8
        .value_kind:     global_buffer
      - .offset:         24
        .size:           4
        .value_kind:     by_value
      - .offset:         28
        .size:           4
        .value_kind:     by_value
    .group_segment_fixed_size: 0
    .kernarg_segment_align: 8
    .kernarg_segment_size: 32
    .language:       OpenCL C
    .language_version:
      - 2
      - 0
    .max_flat_workgroup_size: 128
    .name:           _ZN7rocprim17ROCPRIM_304000_NS6detail45device_block_merge_mergepath_partition_kernelINS1_37wrapped_merge_sort_block_merge_configINS0_14default_configEiN2at4cuda3cub6detail10OpaqueTypeILi4EEEEEPijNS1_19radix_merge_compareILb1ELb1EiNS0_19identity_decomposerEEEEEvT0_T1_jPSH_T2_SH_
    .private_segment_fixed_size: 0
    .sgpr_count:     12
    .sgpr_spill_count: 0
    .symbol:         _ZN7rocprim17ROCPRIM_304000_NS6detail45device_block_merge_mergepath_partition_kernelINS1_37wrapped_merge_sort_block_merge_configINS0_14default_configEiN2at4cuda3cub6detail10OpaqueTypeILi4EEEEEPijNS1_19radix_merge_compareILb1ELb1EiNS0_19identity_decomposerEEEEEvT0_T1_jPSH_T2_SH_.kd
    .uniform_work_group_size: 1
    .uses_dynamic_stack: false
    .vgpr_count:     17
    .vgpr_spill_count: 0
    .wavefront_size: 64
  - .args:
      - .address_space:  global
        .offset:         0
        .size:           8
        .value_kind:     global_buffer
      - .address_space:  global
        .offset:         8
        .size:           8
        .value_kind:     global_buffer
      - .address_space:  global
        .offset:         16
        .size:           8
        .value_kind:     global_buffer
      - .address_space:  global
        .offset:         24
        .size:           8
        .value_kind:     global_buffer
      - .offset:         32
        .size:           4
        .value_kind:     by_value
      - .offset:         36
        .size:           4
        .value_kind:     by_value
      - .offset:         40
        .size:           4
        .value_kind:     by_value
      - .offset:         44
        .size:           4
        .value_kind:     by_value
      - .address_space:  global
        .offset:         48
        .size:           8
        .value_kind:     global_buffer
      - .address_space:  global
        .offset:         56
        .size:           8
        .value_kind:     global_buffer
      - .offset:         64
        .size:           4
        .value_kind:     hidden_block_count_x
      - .offset:         68
        .size:           4
        .value_kind:     hidden_block_count_y
      - .offset:         72
        .size:           4
        .value_kind:     hidden_block_count_z
      - .offset:         76
        .size:           2
        .value_kind:     hidden_group_size_x
      - .offset:         78
        .size:           2
        .value_kind:     hidden_group_size_y
      - .offset:         80
        .size:           2
        .value_kind:     hidden_group_size_z
      - .offset:         82
        .size:           2
        .value_kind:     hidden_remainder_x
      - .offset:         84
        .size:           2
        .value_kind:     hidden_remainder_y
      - .offset:         86
        .size:           2
        .value_kind:     hidden_remainder_z
      - .offset:         104
        .size:           8
        .value_kind:     hidden_global_offset_x
      - .offset:         112
        .size:           8
        .value_kind:     hidden_global_offset_y
      - .offset:         120
        .size:           8
        .value_kind:     hidden_global_offset_z
      - .offset:         128
        .size:           2
        .value_kind:     hidden_grid_dims
    .group_segment_fixed_size: 4224
    .kernarg_segment_align: 8
    .kernarg_segment_size: 320
    .language:       OpenCL C
    .language_version:
      - 2
      - 0
    .max_flat_workgroup_size: 128
    .name:           _ZN7rocprim17ROCPRIM_304000_NS6detail35device_block_merge_mergepath_kernelINS1_37wrapped_merge_sort_block_merge_configINS0_14default_configEiN2at4cuda3cub6detail10OpaqueTypeILi4EEEEEPiSC_PSA_SD_jNS1_19radix_merge_compareILb1ELb1EiNS0_19identity_decomposerEEEEEvT0_T1_T2_T3_T4_SL_jT5_PKSL_NS1_7vsmem_tE
    .private_segment_fixed_size: 0
    .sgpr_count:     43
    .sgpr_spill_count: 0
    .symbol:         _ZN7rocprim17ROCPRIM_304000_NS6detail35device_block_merge_mergepath_kernelINS1_37wrapped_merge_sort_block_merge_configINS0_14default_configEiN2at4cuda3cub6detail10OpaqueTypeILi4EEEEEPiSC_PSA_SD_jNS1_19radix_merge_compareILb1ELb1EiNS0_19identity_decomposerEEEEEvT0_T1_T2_T3_T4_SL_jT5_PKSL_NS1_7vsmem_tE.kd
    .uniform_work_group_size: 1
    .uses_dynamic_stack: false
    .vgpr_count:     32
    .vgpr_spill_count: 0
    .wavefront_size: 64
  - .args:
      - .address_space:  global
        .offset:         0
        .size:           8
        .value_kind:     global_buffer
      - .address_space:  global
        .offset:         8
        .size:           8
        .value_kind:     global_buffer
      - .address_space:  global
        .offset:         16
        .size:           8
        .value_kind:     global_buffer
      - .address_space:  global
        .offset:         24
        .size:           8
        .value_kind:     global_buffer
      - .offset:         32
        .size:           4
        .value_kind:     by_value
      - .offset:         36
        .size:           4
        .value_kind:     by_value
      - .offset:         40
        .size:           4
        .value_kind:     by_value
    .group_segment_fixed_size: 0
    .kernarg_segment_align: 8
    .kernarg_segment_size: 44
    .language:       OpenCL C
    .language_version:
      - 2
      - 0
    .max_flat_workgroup_size: 256
    .name:           _ZN7rocprim17ROCPRIM_304000_NS6detail33device_block_merge_oddeven_kernelINS1_37wrapped_merge_sort_block_merge_configINS0_14default_configEiN2at4cuda3cub6detail10OpaqueTypeILi4EEEEEPiSC_PSA_SD_jNS1_19radix_merge_compareILb1ELb1EiNS0_19identity_decomposerEEEEEvT0_T1_T2_T3_T4_SL_T5_
    .private_segment_fixed_size: 0
    .sgpr_count:     28
    .sgpr_spill_count: 0
    .symbol:         _ZN7rocprim17ROCPRIM_304000_NS6detail33device_block_merge_oddeven_kernelINS1_37wrapped_merge_sort_block_merge_configINS0_14default_configEiN2at4cuda3cub6detail10OpaqueTypeILi4EEEEEPiSC_PSA_SD_jNS1_19radix_merge_compareILb1ELb1EiNS0_19identity_decomposerEEEEEvT0_T1_T2_T3_T4_SL_T5_.kd
    .uniform_work_group_size: 1
    .uses_dynamic_stack: false
    .vgpr_count:     12
    .vgpr_spill_count: 0
    .wavefront_size: 64
  - .args:
      - .address_space:  global
        .offset:         0
        .size:           8
        .value_kind:     global_buffer
      - .address_space:  global
        .offset:         8
        .size:           8
        .value_kind:     global_buffer
      - .offset:         16
        .size:           8
        .value_kind:     by_value
      - .offset:         24
        .size:           8
        .value_kind:     by_value
      - .offset:         32
        .size:           1
        .value_kind:     by_value
      - .offset:         36
        .size:           4
        .value_kind:     by_value
      - .offset:         40
        .size:           4
        .value_kind:     by_value
    .group_segment_fixed_size: 3584
    .kernarg_segment_align: 8
    .kernarg_segment_size: 44
    .language:       OpenCL C
    .language_version:
      - 2
      - 0
    .max_flat_workgroup_size: 512
    .name:           _ZN7rocprim17ROCPRIM_304000_NS6detail26onesweep_histograms_kernelINS1_34wrapped_radix_sort_onesweep_configINS0_14default_configEiN2at4cuda3cub6detail10OpaqueTypeILi4EEEEELb1EPKimNS0_19identity_decomposerEEEvT1_PT2_SG_SG_T3_jj
    .private_segment_fixed_size: 0
    .sgpr_count:     41
    .sgpr_spill_count: 0
    .symbol:         _ZN7rocprim17ROCPRIM_304000_NS6detail26onesweep_histograms_kernelINS1_34wrapped_radix_sort_onesweep_configINS0_14default_configEiN2at4cuda3cub6detail10OpaqueTypeILi4EEEEELb1EPKimNS0_19identity_decomposerEEEvT1_PT2_SG_SG_T3_jj.kd
    .uniform_work_group_size: 1
    .uses_dynamic_stack: false
    .vgpr_count:     25
    .vgpr_spill_count: 0
    .wavefront_size: 64
  - .args:
      - .address_space:  global
        .offset:         0
        .size:           8
        .value_kind:     global_buffer
    .group_segment_fixed_size: 64
    .kernarg_segment_align: 8
    .kernarg_segment_size: 8
    .language:       OpenCL C
    .language_version:
      - 2
      - 0
    .max_flat_workgroup_size: 512
    .name:           _ZN7rocprim17ROCPRIM_304000_NS6detail31onesweep_scan_histograms_kernelINS1_34wrapped_radix_sort_onesweep_configINS0_14default_configEiN2at4cuda3cub6detail10OpaqueTypeILi4EEEEEmEEvPT0_
    .private_segment_fixed_size: 0
    .sgpr_count:     12
    .sgpr_spill_count: 0
    .symbol:         _ZN7rocprim17ROCPRIM_304000_NS6detail31onesweep_scan_histograms_kernelINS1_34wrapped_radix_sort_onesweep_configINS0_14default_configEiN2at4cuda3cub6detail10OpaqueTypeILi4EEEEEmEEvPT0_.kd
    .uniform_work_group_size: 1
    .uses_dynamic_stack: false
    .vgpr_count:     12
    .vgpr_spill_count: 0
    .wavefront_size: 64
  - .args:
      - .address_space:  global
        .offset:         0
        .size:           8
        .value_kind:     global_buffer
      - .offset:         8
        .size:           8
        .value_kind:     by_value
      - .address_space:  global
        .offset:         16
        .size:           8
        .value_kind:     global_buffer
      - .offset:         24
        .size:           1
        .value_kind:     by_value
      - .offset:         32
        .size:           4
        .value_kind:     hidden_block_count_x
      - .offset:         36
        .size:           4
        .value_kind:     hidden_block_count_y
      - .offset:         40
        .size:           4
        .value_kind:     hidden_block_count_z
      - .offset:         44
        .size:           2
        .value_kind:     hidden_group_size_x
      - .offset:         46
        .size:           2
        .value_kind:     hidden_group_size_y
      - .offset:         48
        .size:           2
        .value_kind:     hidden_group_size_z
      - .offset:         50
        .size:           2
        .value_kind:     hidden_remainder_x
      - .offset:         52
        .size:           2
        .value_kind:     hidden_remainder_y
      - .offset:         54
        .size:           2
        .value_kind:     hidden_remainder_z
      - .offset:         72
        .size:           8
        .value_kind:     hidden_global_offset_x
      - .offset:         80
        .size:           8
        .value_kind:     hidden_global_offset_y
      - .offset:         88
        .size:           8
        .value_kind:     hidden_global_offset_z
      - .offset:         96
        .size:           2
        .value_kind:     hidden_grid_dims
    .group_segment_fixed_size: 0
    .kernarg_segment_align: 8
    .kernarg_segment_size: 288
    .language:       OpenCL C
    .language_version:
      - 2
      - 0
    .max_flat_workgroup_size: 1024
    .name:           _ZN7rocprim17ROCPRIM_304000_NS6detail16transform_kernelINS1_24wrapped_transform_configINS0_14default_configEiEEiPKiPiNS0_8identityIiEEEEvT1_mT2_T3_
    .private_segment_fixed_size: 0
    .sgpr_count:     16
    .sgpr_spill_count: 0
    .symbol:         _ZN7rocprim17ROCPRIM_304000_NS6detail16transform_kernelINS1_24wrapped_transform_configINS0_14default_configEiEEiPKiPiNS0_8identityIiEEEEvT1_mT2_T3_.kd
    .uniform_work_group_size: 1
    .uses_dynamic_stack: false
    .vgpr_count:     8
    .vgpr_spill_count: 0
    .wavefront_size: 64
  - .args:
      - .address_space:  global
        .offset:         0
        .size:           8
        .value_kind:     global_buffer
      - .offset:         8
        .size:           8
        .value_kind:     by_value
      - .address_space:  global
        .offset:         16
        .size:           8
        .value_kind:     global_buffer
      - .offset:         24
        .size:           1
        .value_kind:     by_value
      - .offset:         32
        .size:           4
        .value_kind:     hidden_block_count_x
      - .offset:         36
        .size:           4
        .value_kind:     hidden_block_count_y
      - .offset:         40
        .size:           4
        .value_kind:     hidden_block_count_z
      - .offset:         44
        .size:           2
        .value_kind:     hidden_group_size_x
      - .offset:         46
        .size:           2
        .value_kind:     hidden_group_size_y
      - .offset:         48
        .size:           2
        .value_kind:     hidden_group_size_z
      - .offset:         50
        .size:           2
        .value_kind:     hidden_remainder_x
      - .offset:         52
        .size:           2
        .value_kind:     hidden_remainder_y
      - .offset:         54
        .size:           2
        .value_kind:     hidden_remainder_z
      - .offset:         72
        .size:           8
        .value_kind:     hidden_global_offset_x
      - .offset:         80
        .size:           8
        .value_kind:     hidden_global_offset_y
      - .offset:         88
        .size:           8
        .value_kind:     hidden_global_offset_z
      - .offset:         96
        .size:           2
        .value_kind:     hidden_grid_dims
    .group_segment_fixed_size: 0
    .kernarg_segment_align: 8
    .kernarg_segment_size: 288
    .language:       OpenCL C
    .language_version:
      - 2
      - 0
    .max_flat_workgroup_size: 1024
    .name:           _ZN7rocprim17ROCPRIM_304000_NS6detail16transform_kernelINS1_24wrapped_transform_configINS0_14default_configEN2at4cuda3cub6detail10OpaqueTypeILi4EEEEESA_PKSA_PSA_NS0_8identityISA_EEEEvT1_mT2_T3_
    .private_segment_fixed_size: 0
    .sgpr_count:     16
    .sgpr_spill_count: 0
    .symbol:         _ZN7rocprim17ROCPRIM_304000_NS6detail16transform_kernelINS1_24wrapped_transform_configINS0_14default_configEN2at4cuda3cub6detail10OpaqueTypeILi4EEEEESA_PKSA_PSA_NS0_8identityISA_EEEEvT1_mT2_T3_.kd
    .uniform_work_group_size: 1
    .uses_dynamic_stack: false
    .vgpr_count:     7
    .vgpr_spill_count: 0
    .wavefront_size: 64
  - .args:
      - .address_space:  global
        .offset:         0
        .size:           8
        .value_kind:     global_buffer
      - .address_space:  global
        .offset:         8
        .size:           8
        .value_kind:     global_buffer
      - .address_space:  global
        .offset:         16
        .size:           8
        .value_kind:     global_buffer
      - .address_space:  global
        .offset:         24
        .size:           8
        .value_kind:     global_buffer
      - .offset:         32
        .size:           4
        .value_kind:     by_value
      - .address_space:  global
        .offset:         40
        .size:           8
        .value_kind:     global_buffer
      - .address_space:  global
        .offset:         48
        .size:           8
        .value_kind:     global_buffer
      - .address_space:  global
        .offset:         56
        .size:           8
        .value_kind:     global_buffer
      - .offset:         64
        .size:           1
        .value_kind:     by_value
      - .offset:         68
        .size:           4
        .value_kind:     by_value
      - .offset:         72
        .size:           4
        .value_kind:     by_value
      - .offset:         76
        .size:           4
        .value_kind:     by_value
      - .offset:         80
        .size:           4
        .value_kind:     hidden_block_count_x
      - .offset:         84
        .size:           4
        .value_kind:     hidden_block_count_y
      - .offset:         88
        .size:           4
        .value_kind:     hidden_block_count_z
      - .offset:         92
        .size:           2
        .value_kind:     hidden_group_size_x
      - .offset:         94
        .size:           2
        .value_kind:     hidden_group_size_y
      - .offset:         96
        .size:           2
        .value_kind:     hidden_group_size_z
      - .offset:         98
        .size:           2
        .value_kind:     hidden_remainder_x
      - .offset:         100
        .size:           2
        .value_kind:     hidden_remainder_y
      - .offset:         102
        .size:           2
        .value_kind:     hidden_remainder_z
      - .offset:         120
        .size:           8
        .value_kind:     hidden_global_offset_x
      - .offset:         128
        .size:           8
        .value_kind:     hidden_global_offset_y
      - .offset:         136
        .size:           8
        .value_kind:     hidden_global_offset_z
      - .offset:         144
        .size:           2
        .value_kind:     hidden_grid_dims
    .group_segment_fixed_size: 24832
    .kernarg_segment_align: 8
    .kernarg_segment_size: 336
    .language:       OpenCL C
    .language_version:
      - 2
      - 0
    .max_flat_workgroup_size: 512
    .name:           _ZN7rocprim17ROCPRIM_304000_NS6detail25onesweep_iteration_kernelINS1_34wrapped_radix_sort_onesweep_configINS0_14default_configEiN2at4cuda3cub6detail10OpaqueTypeILi4EEEEELb1EPKiPiPKSA_PSA_mNS0_19identity_decomposerEEEvT1_T2_T3_T4_jPT5_SO_PNS1_23onesweep_lookback_stateET6_jjj
    .private_segment_fixed_size: 0
    .sgpr_count:     82
    .sgpr_spill_count: 0
    .symbol:         _ZN7rocprim17ROCPRIM_304000_NS6detail25onesweep_iteration_kernelINS1_34wrapped_radix_sort_onesweep_configINS0_14default_configEiN2at4cuda3cub6detail10OpaqueTypeILi4EEEEELb1EPKiPiPKSA_PSA_mNS0_19identity_decomposerEEEvT1_T2_T3_T4_jPT5_SO_PNS1_23onesweep_lookback_stateET6_jjj.kd
    .uniform_work_group_size: 1
    .uses_dynamic_stack: false
    .vgpr_count:     63
    .vgpr_spill_count: 0
    .wavefront_size: 64
  - .args:
      - .address_space:  global
        .offset:         0
        .size:           8
        .value_kind:     global_buffer
      - .address_space:  global
        .offset:         8
        .size:           8
        .value_kind:     global_buffer
      - .address_space:  global
        .offset:         16
        .size:           8
        .value_kind:     global_buffer
      - .address_space:  global
        .offset:         24
        .size:           8
        .value_kind:     global_buffer
      - .offset:         32
        .size:           4
        .value_kind:     by_value
      - .address_space:  global
        .offset:         40
        .size:           8
        .value_kind:     global_buffer
      - .address_space:  global
        .offset:         48
        .size:           8
        .value_kind:     global_buffer
      - .address_space:  global
        .offset:         56
        .size:           8
        .value_kind:     global_buffer
      - .offset:         64
        .size:           1
        .value_kind:     by_value
      - .offset:         68
        .size:           4
        .value_kind:     by_value
      - .offset:         72
        .size:           4
        .value_kind:     by_value
      - .offset:         76
        .size:           4
        .value_kind:     by_value
      - .offset:         80
        .size:           4
        .value_kind:     hidden_block_count_x
      - .offset:         84
        .size:           4
        .value_kind:     hidden_block_count_y
      - .offset:         88
        .size:           4
        .value_kind:     hidden_block_count_z
      - .offset:         92
        .size:           2
        .value_kind:     hidden_group_size_x
      - .offset:         94
        .size:           2
        .value_kind:     hidden_group_size_y
      - .offset:         96
        .size:           2
        .value_kind:     hidden_group_size_z
      - .offset:         98
        .size:           2
        .value_kind:     hidden_remainder_x
      - .offset:         100
        .size:           2
        .value_kind:     hidden_remainder_y
      - .offset:         102
        .size:           2
        .value_kind:     hidden_remainder_z
      - .offset:         120
        .size:           8
        .value_kind:     hidden_global_offset_x
      - .offset:         128
        .size:           8
        .value_kind:     hidden_global_offset_y
      - .offset:         136
        .size:           8
        .value_kind:     hidden_global_offset_z
      - .offset:         144
        .size:           2
        .value_kind:     hidden_grid_dims
    .group_segment_fixed_size: 24832
    .kernarg_segment_align: 8
    .kernarg_segment_size: 336
    .language:       OpenCL C
    .language_version:
      - 2
      - 0
    .max_flat_workgroup_size: 512
    .name:           _ZN7rocprim17ROCPRIM_304000_NS6detail25onesweep_iteration_kernelINS1_34wrapped_radix_sort_onesweep_configINS0_14default_configEiN2at4cuda3cub6detail10OpaqueTypeILi4EEEEELb1EPiSC_PSA_SD_mNS0_19identity_decomposerEEEvT1_T2_T3_T4_jPT5_SK_PNS1_23onesweep_lookback_stateET6_jjj
    .private_segment_fixed_size: 0
    .sgpr_count:     82
    .sgpr_spill_count: 0
    .symbol:         _ZN7rocprim17ROCPRIM_304000_NS6detail25onesweep_iteration_kernelINS1_34wrapped_radix_sort_onesweep_configINS0_14default_configEiN2at4cuda3cub6detail10OpaqueTypeILi4EEEEELb1EPiSC_PSA_SD_mNS0_19identity_decomposerEEEvT1_T2_T3_T4_jPT5_SK_PNS1_23onesweep_lookback_stateET6_jjj.kd
    .uniform_work_group_size: 1
    .uses_dynamic_stack: false
    .vgpr_count:     63
    .vgpr_spill_count: 0
    .wavefront_size: 64
  - .args:
      - .address_space:  global
        .offset:         0
        .size:           8
        .value_kind:     global_buffer
      - .address_space:  global
        .offset:         8
        .size:           8
        .value_kind:     global_buffer
      - .address_space:  global
        .offset:         16
        .size:           8
        .value_kind:     global_buffer
      - .address_space:  global
        .offset:         24
        .size:           8
        .value_kind:     global_buffer
      - .offset:         32
        .size:           4
        .value_kind:     by_value
      - .offset:         36
        .size:           1
        .value_kind:     by_value
      - .offset:         40
        .size:           4
        .value_kind:     by_value
      - .offset:         44
        .size:           4
        .value_kind:     by_value
      - .offset:         48
        .size:           4
        .value_kind:     hidden_block_count_x
      - .offset:         52
        .size:           4
        .value_kind:     hidden_block_count_y
      - .offset:         56
        .size:           4
        .value_kind:     hidden_block_count_z
      - .offset:         60
        .size:           2
        .value_kind:     hidden_group_size_x
      - .offset:         62
        .size:           2
        .value_kind:     hidden_group_size_y
      - .offset:         64
        .size:           2
        .value_kind:     hidden_group_size_z
      - .offset:         66
        .size:           2
        .value_kind:     hidden_remainder_x
      - .offset:         68
        .size:           2
        .value_kind:     hidden_remainder_y
      - .offset:         70
        .size:           2
        .value_kind:     hidden_remainder_z
      - .offset:         88
        .size:           8
        .value_kind:     hidden_global_offset_x
      - .offset:         96
        .size:           8
        .value_kind:     hidden_global_offset_y
      - .offset:         104
        .size:           8
        .value_kind:     hidden_global_offset_z
      - .offset:         112
        .size:           2
        .value_kind:     hidden_grid_dims
    .group_segment_fixed_size: 4112
    .kernarg_segment_align: 8
    .kernarg_segment_size: 304
    .language:       OpenCL C
    .language_version:
      - 2
      - 0
    .max_flat_workgroup_size: 256
    .name:           _ZN7rocprim17ROCPRIM_304000_NS6detail28radix_sort_block_sort_kernelINS1_36wrapped_radix_sort_block_sort_configINS0_13kernel_configILj256ELj4ELj4294967295EEEiN2at4cuda3cub6detail10OpaqueTypeILi4EEEEELb0EPKiPiPKSB_PSB_NS0_19identity_decomposerEEEvT1_T2_T3_T4_jT5_jj
    .private_segment_fixed_size: 0
    .sgpr_count:     48
    .sgpr_spill_count: 0
    .symbol:         _ZN7rocprim17ROCPRIM_304000_NS6detail28radix_sort_block_sort_kernelINS1_36wrapped_radix_sort_block_sort_configINS0_13kernel_configILj256ELj4ELj4294967295EEEiN2at4cuda3cub6detail10OpaqueTypeILi4EEEEELb0EPKiPiPKSB_PSB_NS0_19identity_decomposerEEEvT1_T2_T3_T4_jT5_jj.kd
    .uniform_work_group_size: 1
    .uses_dynamic_stack: false
    .vgpr_count:     39
    .vgpr_spill_count: 0
    .wavefront_size: 64
  - .args:
      - .address_space:  global
        .offset:         0
        .size:           8
        .value_kind:     global_buffer
      - .offset:         8
        .size:           4
        .value_kind:     by_value
      - .offset:         12
        .size:           4
        .value_kind:     by_value
      - .address_space:  global
        .offset:         16
        .size:           8
        .value_kind:     global_buffer
      - .offset:         24
        .size:           1
        .value_kind:     by_value
      - .offset:         28
        .size:           4
        .value_kind:     by_value
    .group_segment_fixed_size: 0
    .kernarg_segment_align: 8
    .kernarg_segment_size: 32
    .language:       OpenCL C
    .language_version:
      - 2
      - 0
    .max_flat_workgroup_size: 128
    .name:           _ZN7rocprim17ROCPRIM_304000_NS6detail45device_block_merge_mergepath_partition_kernelINS1_37wrapped_merge_sort_block_merge_configINS0_14default_configEiN2at4cuda3cub6detail10OpaqueTypeILi4EEEEEPijNS1_19radix_merge_compareILb0ELb0EiNS0_19identity_decomposerEEEEEvT0_T1_jPSH_T2_SH_
    .private_segment_fixed_size: 0
    .sgpr_count:     11
    .sgpr_spill_count: 0
    .symbol:         _ZN7rocprim17ROCPRIM_304000_NS6detail45device_block_merge_mergepath_partition_kernelINS1_37wrapped_merge_sort_block_merge_configINS0_14default_configEiN2at4cuda3cub6detail10OpaqueTypeILi4EEEEEPijNS1_19radix_merge_compareILb0ELb0EiNS0_19identity_decomposerEEEEEvT0_T1_jPSH_T2_SH_.kd
    .uniform_work_group_size: 1
    .uses_dynamic_stack: false
    .vgpr_count:     17
    .vgpr_spill_count: 0
    .wavefront_size: 64
  - .args:
      - .address_space:  global
        .offset:         0
        .size:           8
        .value_kind:     global_buffer
      - .address_space:  global
        .offset:         8
        .size:           8
        .value_kind:     global_buffer
      - .address_space:  global
        .offset:         16
        .size:           8
        .value_kind:     global_buffer
      - .address_space:  global
        .offset:         24
        .size:           8
        .value_kind:     global_buffer
      - .offset:         32
        .size:           4
        .value_kind:     by_value
      - .offset:         36
        .size:           4
        .value_kind:     by_value
      - .offset:         40
        .size:           4
        .value_kind:     by_value
      - .offset:         44
        .size:           1
        .value_kind:     by_value
      - .address_space:  global
        .offset:         48
        .size:           8
        .value_kind:     global_buffer
      - .address_space:  global
        .offset:         56
        .size:           8
        .value_kind:     global_buffer
      - .offset:         64
        .size:           4
        .value_kind:     hidden_block_count_x
      - .offset:         68
        .size:           4
        .value_kind:     hidden_block_count_y
      - .offset:         72
        .size:           4
        .value_kind:     hidden_block_count_z
      - .offset:         76
        .size:           2
        .value_kind:     hidden_group_size_x
      - .offset:         78
        .size:           2
        .value_kind:     hidden_group_size_y
      - .offset:         80
        .size:           2
        .value_kind:     hidden_group_size_z
      - .offset:         82
        .size:           2
        .value_kind:     hidden_remainder_x
      - .offset:         84
        .size:           2
        .value_kind:     hidden_remainder_y
      - .offset:         86
        .size:           2
        .value_kind:     hidden_remainder_z
      - .offset:         104
        .size:           8
        .value_kind:     hidden_global_offset_x
      - .offset:         112
        .size:           8
        .value_kind:     hidden_global_offset_y
      - .offset:         120
        .size:           8
        .value_kind:     hidden_global_offset_z
      - .offset:         128
        .size:           2
        .value_kind:     hidden_grid_dims
    .group_segment_fixed_size: 4224
    .kernarg_segment_align: 8
    .kernarg_segment_size: 320
    .language:       OpenCL C
    .language_version:
      - 2
      - 0
    .max_flat_workgroup_size: 128
    .name:           _ZN7rocprim17ROCPRIM_304000_NS6detail35device_block_merge_mergepath_kernelINS1_37wrapped_merge_sort_block_merge_configINS0_14default_configEiN2at4cuda3cub6detail10OpaqueTypeILi4EEEEEPiSC_PSA_SD_jNS1_19radix_merge_compareILb0ELb0EiNS0_19identity_decomposerEEEEEvT0_T1_T2_T3_T4_SL_jT5_PKSL_NS1_7vsmem_tE
    .private_segment_fixed_size: 0
    .sgpr_count:     42
    .sgpr_spill_count: 0
    .symbol:         _ZN7rocprim17ROCPRIM_304000_NS6detail35device_block_merge_mergepath_kernelINS1_37wrapped_merge_sort_block_merge_configINS0_14default_configEiN2at4cuda3cub6detail10OpaqueTypeILi4EEEEEPiSC_PSA_SD_jNS1_19radix_merge_compareILb0ELb0EiNS0_19identity_decomposerEEEEEvT0_T1_T2_T3_T4_SL_jT5_PKSL_NS1_7vsmem_tE.kd
    .uniform_work_group_size: 1
    .uses_dynamic_stack: false
    .vgpr_count:     32
    .vgpr_spill_count: 0
    .wavefront_size: 64
  - .args:
      - .address_space:  global
        .offset:         0
        .size:           8
        .value_kind:     global_buffer
      - .address_space:  global
        .offset:         8
        .size:           8
        .value_kind:     global_buffer
      - .address_space:  global
        .offset:         16
        .size:           8
        .value_kind:     global_buffer
      - .address_space:  global
        .offset:         24
        .size:           8
        .value_kind:     global_buffer
      - .offset:         32
        .size:           4
        .value_kind:     by_value
      - .offset:         36
        .size:           4
        .value_kind:     by_value
      - .offset:         40
        .size:           1
        .value_kind:     by_value
    .group_segment_fixed_size: 0
    .kernarg_segment_align: 8
    .kernarg_segment_size: 44
    .language:       OpenCL C
    .language_version:
      - 2
      - 0
    .max_flat_workgroup_size: 256
    .name:           _ZN7rocprim17ROCPRIM_304000_NS6detail33device_block_merge_oddeven_kernelINS1_37wrapped_merge_sort_block_merge_configINS0_14default_configEiN2at4cuda3cub6detail10OpaqueTypeILi4EEEEEPiSC_PSA_SD_jNS1_19radix_merge_compareILb0ELb0EiNS0_19identity_decomposerEEEEEvT0_T1_T2_T3_T4_SL_T5_
    .private_segment_fixed_size: 0
    .sgpr_count:     26
    .sgpr_spill_count: 0
    .symbol:         _ZN7rocprim17ROCPRIM_304000_NS6detail33device_block_merge_oddeven_kernelINS1_37wrapped_merge_sort_block_merge_configINS0_14default_configEiN2at4cuda3cub6detail10OpaqueTypeILi4EEEEEPiSC_PSA_SD_jNS1_19radix_merge_compareILb0ELb0EiNS0_19identity_decomposerEEEEEvT0_T1_T2_T3_T4_SL_T5_.kd
    .uniform_work_group_size: 1
    .uses_dynamic_stack: false
    .vgpr_count:     11
    .vgpr_spill_count: 0
    .wavefront_size: 64
  - .args:
      - .address_space:  global
        .offset:         0
        .size:           8
        .value_kind:     global_buffer
      - .offset:         8
        .size:           4
        .value_kind:     by_value
      - .offset:         12
        .size:           4
        .value_kind:     by_value
      - .address_space:  global
        .offset:         16
        .size:           8
        .value_kind:     global_buffer
      - .offset:         24
        .size:           4
        .value_kind:     by_value
      - .offset:         28
        .size:           4
        .value_kind:     by_value
    .group_segment_fixed_size: 0
    .kernarg_segment_align: 8
    .kernarg_segment_size: 32
    .language:       OpenCL C
    .language_version:
      - 2
      - 0
    .max_flat_workgroup_size: 128
    .name:           _ZN7rocprim17ROCPRIM_304000_NS6detail45device_block_merge_mergepath_partition_kernelINS1_37wrapped_merge_sort_block_merge_configINS0_14default_configEiN2at4cuda3cub6detail10OpaqueTypeILi4EEEEEPijNS1_19radix_merge_compareILb0ELb1EiNS0_19identity_decomposerEEEEEvT0_T1_jPSH_T2_SH_
    .private_segment_fixed_size: 0
    .sgpr_count:     12
    .sgpr_spill_count: 0
    .symbol:         _ZN7rocprim17ROCPRIM_304000_NS6detail45device_block_merge_mergepath_partition_kernelINS1_37wrapped_merge_sort_block_merge_configINS0_14default_configEiN2at4cuda3cub6detail10OpaqueTypeILi4EEEEEPijNS1_19radix_merge_compareILb0ELb1EiNS0_19identity_decomposerEEEEEvT0_T1_jPSH_T2_SH_.kd
    .uniform_work_group_size: 1
    .uses_dynamic_stack: false
    .vgpr_count:     17
    .vgpr_spill_count: 0
    .wavefront_size: 64
  - .args:
      - .address_space:  global
        .offset:         0
        .size:           8
        .value_kind:     global_buffer
      - .address_space:  global
        .offset:         8
        .size:           8
        .value_kind:     global_buffer
      - .address_space:  global
        .offset:         16
        .size:           8
        .value_kind:     global_buffer
      - .address_space:  global
        .offset:         24
        .size:           8
        .value_kind:     global_buffer
      - .offset:         32
        .size:           4
        .value_kind:     by_value
      - .offset:         36
        .size:           4
        .value_kind:     by_value
      - .offset:         40
        .size:           4
        .value_kind:     by_value
      - .offset:         44
        .size:           4
        .value_kind:     by_value
      - .address_space:  global
        .offset:         48
        .size:           8
        .value_kind:     global_buffer
      - .address_space:  global
        .offset:         56
        .size:           8
        .value_kind:     global_buffer
      - .offset:         64
        .size:           4
        .value_kind:     hidden_block_count_x
      - .offset:         68
        .size:           4
        .value_kind:     hidden_block_count_y
      - .offset:         72
        .size:           4
        .value_kind:     hidden_block_count_z
      - .offset:         76
        .size:           2
        .value_kind:     hidden_group_size_x
      - .offset:         78
        .size:           2
        .value_kind:     hidden_group_size_y
      - .offset:         80
        .size:           2
        .value_kind:     hidden_group_size_z
      - .offset:         82
        .size:           2
        .value_kind:     hidden_remainder_x
      - .offset:         84
        .size:           2
        .value_kind:     hidden_remainder_y
      - .offset:         86
        .size:           2
        .value_kind:     hidden_remainder_z
      - .offset:         104
        .size:           8
        .value_kind:     hidden_global_offset_x
      - .offset:         112
        .size:           8
        .value_kind:     hidden_global_offset_y
      - .offset:         120
        .size:           8
        .value_kind:     hidden_global_offset_z
      - .offset:         128
        .size:           2
        .value_kind:     hidden_grid_dims
    .group_segment_fixed_size: 4224
    .kernarg_segment_align: 8
    .kernarg_segment_size: 320
    .language:       OpenCL C
    .language_version:
      - 2
      - 0
    .max_flat_workgroup_size: 128
    .name:           _ZN7rocprim17ROCPRIM_304000_NS6detail35device_block_merge_mergepath_kernelINS1_37wrapped_merge_sort_block_merge_configINS0_14default_configEiN2at4cuda3cub6detail10OpaqueTypeILi4EEEEEPiSC_PSA_SD_jNS1_19radix_merge_compareILb0ELb1EiNS0_19identity_decomposerEEEEEvT0_T1_T2_T3_T4_SL_jT5_PKSL_NS1_7vsmem_tE
    .private_segment_fixed_size: 0
    .sgpr_count:     43
    .sgpr_spill_count: 0
    .symbol:         _ZN7rocprim17ROCPRIM_304000_NS6detail35device_block_merge_mergepath_kernelINS1_37wrapped_merge_sort_block_merge_configINS0_14default_configEiN2at4cuda3cub6detail10OpaqueTypeILi4EEEEEPiSC_PSA_SD_jNS1_19radix_merge_compareILb0ELb1EiNS0_19identity_decomposerEEEEEvT0_T1_T2_T3_T4_SL_jT5_PKSL_NS1_7vsmem_tE.kd
    .uniform_work_group_size: 1
    .uses_dynamic_stack: false
    .vgpr_count:     32
    .vgpr_spill_count: 0
    .wavefront_size: 64
  - .args:
      - .address_space:  global
        .offset:         0
        .size:           8
        .value_kind:     global_buffer
      - .address_space:  global
        .offset:         8
        .size:           8
        .value_kind:     global_buffer
      - .address_space:  global
        .offset:         16
        .size:           8
        .value_kind:     global_buffer
      - .address_space:  global
        .offset:         24
        .size:           8
        .value_kind:     global_buffer
      - .offset:         32
        .size:           4
        .value_kind:     by_value
      - .offset:         36
        .size:           4
        .value_kind:     by_value
      - .offset:         40
        .size:           4
        .value_kind:     by_value
    .group_segment_fixed_size: 0
    .kernarg_segment_align: 8
    .kernarg_segment_size: 44
    .language:       OpenCL C
    .language_version:
      - 2
      - 0
    .max_flat_workgroup_size: 256
    .name:           _ZN7rocprim17ROCPRIM_304000_NS6detail33device_block_merge_oddeven_kernelINS1_37wrapped_merge_sort_block_merge_configINS0_14default_configEiN2at4cuda3cub6detail10OpaqueTypeILi4EEEEEPiSC_PSA_SD_jNS1_19radix_merge_compareILb0ELb1EiNS0_19identity_decomposerEEEEEvT0_T1_T2_T3_T4_SL_T5_
    .private_segment_fixed_size: 0
    .sgpr_count:     28
    .sgpr_spill_count: 0
    .symbol:         _ZN7rocprim17ROCPRIM_304000_NS6detail33device_block_merge_oddeven_kernelINS1_37wrapped_merge_sort_block_merge_configINS0_14default_configEiN2at4cuda3cub6detail10OpaqueTypeILi4EEEEEPiSC_PSA_SD_jNS1_19radix_merge_compareILb0ELb1EiNS0_19identity_decomposerEEEEEvT0_T1_T2_T3_T4_SL_T5_.kd
    .uniform_work_group_size: 1
    .uses_dynamic_stack: false
    .vgpr_count:     12
    .vgpr_spill_count: 0
    .wavefront_size: 64
  - .args:
      - .address_space:  global
        .offset:         0
        .size:           8
        .value_kind:     global_buffer
      - .address_space:  global
        .offset:         8
        .size:           8
        .value_kind:     global_buffer
      - .offset:         16
        .size:           8
        .value_kind:     by_value
      - .offset:         24
        .size:           8
        .value_kind:     by_value
      - .offset:         32
        .size:           1
        .value_kind:     by_value
      - .offset:         36
        .size:           4
        .value_kind:     by_value
      - .offset:         40
        .size:           4
        .value_kind:     by_value
    .group_segment_fixed_size: 3584
    .kernarg_segment_align: 8
    .kernarg_segment_size: 44
    .language:       OpenCL C
    .language_version:
      - 2
      - 0
    .max_flat_workgroup_size: 512
    .name:           _ZN7rocprim17ROCPRIM_304000_NS6detail26onesweep_histograms_kernelINS1_34wrapped_radix_sort_onesweep_configINS0_14default_configEiN2at4cuda3cub6detail10OpaqueTypeILi4EEEEELb0EPKimNS0_19identity_decomposerEEEvT1_PT2_SG_SG_T3_jj
    .private_segment_fixed_size: 0
    .sgpr_count:     41
    .sgpr_spill_count: 0
    .symbol:         _ZN7rocprim17ROCPRIM_304000_NS6detail26onesweep_histograms_kernelINS1_34wrapped_radix_sort_onesweep_configINS0_14default_configEiN2at4cuda3cub6detail10OpaqueTypeILi4EEEEELb0EPKimNS0_19identity_decomposerEEEvT1_PT2_SG_SG_T3_jj.kd
    .uniform_work_group_size: 1
    .uses_dynamic_stack: false
    .vgpr_count:     25
    .vgpr_spill_count: 0
    .wavefront_size: 64
  - .args:
      - .address_space:  global
        .offset:         0
        .size:           8
        .value_kind:     global_buffer
      - .address_space:  global
        .offset:         8
        .size:           8
        .value_kind:     global_buffer
      - .address_space:  global
        .offset:         16
        .size:           8
        .value_kind:     global_buffer
      - .address_space:  global
        .offset:         24
        .size:           8
        .value_kind:     global_buffer
      - .offset:         32
        .size:           4
        .value_kind:     by_value
      - .address_space:  global
        .offset:         40
        .size:           8
        .value_kind:     global_buffer
      - .address_space:  global
        .offset:         48
        .size:           8
        .value_kind:     global_buffer
      - .address_space:  global
        .offset:         56
        .size:           8
        .value_kind:     global_buffer
      - .offset:         64
        .size:           1
        .value_kind:     by_value
      - .offset:         68
        .size:           4
        .value_kind:     by_value
      - .offset:         72
        .size:           4
        .value_kind:     by_value
      - .offset:         76
        .size:           4
        .value_kind:     by_value
      - .offset:         80
        .size:           4
        .value_kind:     hidden_block_count_x
      - .offset:         84
        .size:           4
        .value_kind:     hidden_block_count_y
      - .offset:         88
        .size:           4
        .value_kind:     hidden_block_count_z
      - .offset:         92
        .size:           2
        .value_kind:     hidden_group_size_x
      - .offset:         94
        .size:           2
        .value_kind:     hidden_group_size_y
      - .offset:         96
        .size:           2
        .value_kind:     hidden_group_size_z
      - .offset:         98
        .size:           2
        .value_kind:     hidden_remainder_x
      - .offset:         100
        .size:           2
        .value_kind:     hidden_remainder_y
      - .offset:         102
        .size:           2
        .value_kind:     hidden_remainder_z
      - .offset:         120
        .size:           8
        .value_kind:     hidden_global_offset_x
      - .offset:         128
        .size:           8
        .value_kind:     hidden_global_offset_y
      - .offset:         136
        .size:           8
        .value_kind:     hidden_global_offset_z
      - .offset:         144
        .size:           2
        .value_kind:     hidden_grid_dims
    .group_segment_fixed_size: 24832
    .kernarg_segment_align: 8
    .kernarg_segment_size: 336
    .language:       OpenCL C
    .language_version:
      - 2
      - 0
    .max_flat_workgroup_size: 512
    .name:           _ZN7rocprim17ROCPRIM_304000_NS6detail25onesweep_iteration_kernelINS1_34wrapped_radix_sort_onesweep_configINS0_14default_configEiN2at4cuda3cub6detail10OpaqueTypeILi4EEEEELb0EPKiPiPKSA_PSA_mNS0_19identity_decomposerEEEvT1_T2_T3_T4_jPT5_SO_PNS1_23onesweep_lookback_stateET6_jjj
    .private_segment_fixed_size: 0
    .sgpr_count:     82
    .sgpr_spill_count: 0
    .symbol:         _ZN7rocprim17ROCPRIM_304000_NS6detail25onesweep_iteration_kernelINS1_34wrapped_radix_sort_onesweep_configINS0_14default_configEiN2at4cuda3cub6detail10OpaqueTypeILi4EEEEELb0EPKiPiPKSA_PSA_mNS0_19identity_decomposerEEEvT1_T2_T3_T4_jPT5_SO_PNS1_23onesweep_lookback_stateET6_jjj.kd
    .uniform_work_group_size: 1
    .uses_dynamic_stack: false
    .vgpr_count:     63
    .vgpr_spill_count: 0
    .wavefront_size: 64
  - .args:
      - .address_space:  global
        .offset:         0
        .size:           8
        .value_kind:     global_buffer
      - .address_space:  global
        .offset:         8
        .size:           8
        .value_kind:     global_buffer
      - .address_space:  global
        .offset:         16
        .size:           8
        .value_kind:     global_buffer
      - .address_space:  global
        .offset:         24
        .size:           8
        .value_kind:     global_buffer
      - .offset:         32
        .size:           4
        .value_kind:     by_value
      - .address_space:  global
        .offset:         40
        .size:           8
        .value_kind:     global_buffer
      - .address_space:  global
        .offset:         48
        .size:           8
        .value_kind:     global_buffer
      - .address_space:  global
        .offset:         56
        .size:           8
        .value_kind:     global_buffer
      - .offset:         64
        .size:           1
        .value_kind:     by_value
      - .offset:         68
        .size:           4
        .value_kind:     by_value
      - .offset:         72
        .size:           4
        .value_kind:     by_value
      - .offset:         76
        .size:           4
        .value_kind:     by_value
      - .offset:         80
        .size:           4
        .value_kind:     hidden_block_count_x
      - .offset:         84
        .size:           4
        .value_kind:     hidden_block_count_y
      - .offset:         88
        .size:           4
        .value_kind:     hidden_block_count_z
      - .offset:         92
        .size:           2
        .value_kind:     hidden_group_size_x
      - .offset:         94
        .size:           2
        .value_kind:     hidden_group_size_y
      - .offset:         96
        .size:           2
        .value_kind:     hidden_group_size_z
      - .offset:         98
        .size:           2
        .value_kind:     hidden_remainder_x
      - .offset:         100
        .size:           2
        .value_kind:     hidden_remainder_y
      - .offset:         102
        .size:           2
        .value_kind:     hidden_remainder_z
      - .offset:         120
        .size:           8
        .value_kind:     hidden_global_offset_x
      - .offset:         128
        .size:           8
        .value_kind:     hidden_global_offset_y
      - .offset:         136
        .size:           8
        .value_kind:     hidden_global_offset_z
      - .offset:         144
        .size:           2
        .value_kind:     hidden_grid_dims
    .group_segment_fixed_size: 24832
    .kernarg_segment_align: 8
    .kernarg_segment_size: 336
    .language:       OpenCL C
    .language_version:
      - 2
      - 0
    .max_flat_workgroup_size: 512
    .name:           _ZN7rocprim17ROCPRIM_304000_NS6detail25onesweep_iteration_kernelINS1_34wrapped_radix_sort_onesweep_configINS0_14default_configEiN2at4cuda3cub6detail10OpaqueTypeILi4EEEEELb0EPiSC_PSA_SD_mNS0_19identity_decomposerEEEvT1_T2_T3_T4_jPT5_SK_PNS1_23onesweep_lookback_stateET6_jjj
    .private_segment_fixed_size: 0
    .sgpr_count:     82
    .sgpr_spill_count: 0
    .symbol:         _ZN7rocprim17ROCPRIM_304000_NS6detail25onesweep_iteration_kernelINS1_34wrapped_radix_sort_onesweep_configINS0_14default_configEiN2at4cuda3cub6detail10OpaqueTypeILi4EEEEELb0EPiSC_PSA_SD_mNS0_19identity_decomposerEEEvT1_T2_T3_T4_jPT5_SK_PNS1_23onesweep_lookback_stateET6_jjj.kd
    .uniform_work_group_size: 1
    .uses_dynamic_stack: false
    .vgpr_count:     63
    .vgpr_spill_count: 0
    .wavefront_size: 64
amdhsa.target:   amdgcn-amd-amdhsa--gfx906
amdhsa.version:
  - 1
  - 2
...

	.end_amdgpu_metadata
